;; amdgpu-corpus repo=ROCm/rocFFT kind=compiled arch=gfx950 opt=O3
	.text
	.amdgcn_target "amdgcn-amd-amdhsa--gfx950"
	.amdhsa_code_object_version 6
	.protected	bluestein_single_back_len936_dim1_half_op_CI_CI ; -- Begin function bluestein_single_back_len936_dim1_half_op_CI_CI
	.globl	bluestein_single_back_len936_dim1_half_op_CI_CI
	.p2align	8
	.type	bluestein_single_back_len936_dim1_half_op_CI_CI,@function
bluestein_single_back_len936_dim1_half_op_CI_CI: ; @bluestein_single_back_len936_dim1_half_op_CI_CI
; %bb.0:
	s_load_dwordx4 s[16:19], s[0:1], 0x28
	v_mul_u32_u24_e32 v1, 0x349, v0
	v_lshrrev_b32_e32 v2, 16, v1
	v_mad_u64_u32 v[14:15], s[2:3], s2, 3, v[2:3]
	v_mov_b32_e32 v13, 0
	v_mov_b32_e32 v15, v13
	s_waitcnt lgkmcnt(0)
	v_cmp_gt_u64_e32 vcc, s[16:17], v[14:15]
	s_and_saveexec_b64 s[2:3], vcc
	s_cbranch_execz .LBB0_10
; %bb.1:
	s_load_dwordx4 s[4:7], s[0:1], 0x18
	s_load_dwordx4 s[8:11], s[0:1], 0x0
	v_mul_lo_u16_e32 v1, 0x4e, v2
	v_sub_u16_e32 v12, v0, v1
	v_mov_b32_e32 v4, s18
	s_waitcnt lgkmcnt(0)
	s_load_dwordx4 s[12:15], s[4:5], 0x0
	v_mov_b32_e32 v5, s19
	v_lshlrev_b32_e32 v26, 2, v12
	global_load_dword v55, v26, s[8:9]
	v_and_b32_e32 v27, 1, v12
	s_waitcnt lgkmcnt(0)
	v_mad_u64_u32 v[0:1], s[2:3], s14, v14, 0
	v_mov_b32_e32 v2, v1
	v_mad_u64_u32 v[2:3], s[2:3], s15, v14, v[2:3]
	v_mov_b32_e32 v1, v2
	;; [unrolled: 2-line block ×4, first 2 shown]
	v_lshl_add_u64 v[0:1], v[0:1], 2, v[4:5]
	v_lshl_add_u64 v[0:1], v[2:3], 2, v[0:1]
	global_load_dword v2, v[0:1], off
	v_mov_b32_e32 v3, 0x750
	v_mad_u64_u32 v[0:1], s[2:3], s12, v3, v[0:1]
	s_mul_i32 s14, s13, 0x750
	v_add_u32_e32 v1, s14, v1
	global_load_dword v4, v[0:1], off
	global_load_dword v54, v26, s[8:9] offset:1872
	v_mov_b32_e32 v5, 0xfffff9e8
	v_mad_u64_u32 v[0:1], s[2:3], s12, v5, v[0:1]
	s_mul_i32 s2, s13, 0xfffff9e8
	s_sub_i32 s13, s2, s12
	v_add_u32_e32 v1, s13, v1
	global_load_dword v6, v[0:1], off
	global_load_dword v53, v26, s[8:9] offset:312
	v_mad_u64_u32 v[0:1], s[2:3], s12, v3, v[0:1]
	v_add_u32_e32 v1, s14, v1
	global_load_dword v7, v[0:1], off
	global_load_dword v51, v26, s[8:9] offset:2184
	v_mad_u64_u32 v[0:1], s[2:3], s12, v5, v[0:1]
	;; [unrolled: 4-line block ×3, first 2 shown]
	v_add_u32_e32 v1, s14, v1
	global_load_dword v9, v[0:1], off
	global_load_dword v49, v26, s[8:9] offset:2496
	s_mov_b32 s2, 0xaaaaaaab
	v_mul_hi_u32 v10, v14, s2
	v_mad_u64_u32 v[0:1], s[2:3], s12, v5, v[0:1]
	v_add_u32_e32 v1, s13, v1
	global_load_dword v11, v[0:1], off
	global_load_dword v48, v26, s[8:9] offset:936
	v_lshrrev_b32_e32 v10, 1, v10
	v_mad_u64_u32 v[0:1], s[2:3], s12, v3, v[0:1]
	v_lshl_add_u32 v10, v10, 1, v10
	v_add_u32_e32 v1, s14, v1
	v_sub_u32_e32 v10, v14, v10
	s_load_dwordx4 s[4:7], s[6:7], 0x0
	global_load_dword v20, v[0:1], off
	global_load_dword v47, v26, s[8:9] offset:2808
	global_load_dword v46, v26, s[8:9] offset:1248
	;; [unrolled: 1-line block ×3, first 2 shown]
	v_mad_u64_u32 v[0:1], s[2:3], s12, v5, v[0:1]
	v_mul_u32_u24_e32 v10, 0x3a8, v10
	v_add_u32_e32 v1, s13, v1
	v_lshlrev_b32_e32 v56, 2, v10
	global_load_dword v10, v[0:1], off
	v_mad_u64_u32 v[0:1], s[2:3], s12, v3, v[0:1]
	v_add_u32_e32 v1, s14, v1
	global_load_dword v24, v[0:1], off
	global_load_dword v45, v26, s[8:9] offset:3120
	v_mad_u64_u32 v[0:1], s[2:3], s12, v5, v[0:1]
	v_add_u32_e32 v1, s13, v1
	global_load_dword v5, v[0:1], off
	v_mad_u64_u32 v[0:1], s[2:3], s12, v3, v[0:1]
	v_add_u32_e32 v1, s14, v1
	global_load_dword v3, v[0:1], off
	v_add_u32_e32 v52, v26, v56
	s_mov_b64 s[2:3], 0x4e
	v_lshl_add_u64 v[22:23], v[12:13], 0, s[2:3]
	s_mov_b64 s[2:3], 0x9c
	v_lshl_add_u64 v[16:17], v[12:13], 0, s[2:3]
	v_add_u32_e32 v17, 0xc00, v52
	s_mov_b64 s[2:3], 0xea
	v_lshl_add_u64 v[18:19], v[12:13], 0, s[2:3]
	s_mov_b64 s[2:3], 0x138
	v_lshl_add_u32 v40, v12, 3, v56
	v_lshl_add_u32 v41, v22, 3, v56
	;; [unrolled: 1-line block ×4, first 2 shown]
	v_lshlrev_b32_e32 v19, 1, v12
                                        ; implicit-def: $vgpr83
                                        ; implicit-def: $vgpr84
	s_waitcnt vmcnt(21)
	v_lshrrev_b32_e32 v0, 16, v2
	v_mul_f16_sdwa v1, v55, v2 dst_sel:DWORD dst_unused:UNUSED_PAD src0_sel:WORD_1 src1_sel:DWORD
	v_mul_f16_sdwa v15, v55, v0 dst_sel:DWORD dst_unused:UNUSED_PAD src0_sel:WORD_1 src1_sel:DWORD
	v_fma_f16 v0, v55, v0, -v1
	v_fma_f16 v1, v55, v2, v15
	global_load_dword v15, v26, s[8:9] offset:3432
	s_waitcnt vmcnt(21)
	v_lshrrev_b32_e32 v2, 16, v4
	v_pack_b32_f16 v0, v1, v0
	s_waitcnt vmcnt(20)
	v_mul_f16_sdwa v1, v54, v2 dst_sel:DWORD dst_unused:UNUSED_PAD src0_sel:WORD_1 src1_sel:DWORD
	v_fma_f16 v1, v54, v4, v1
	v_mul_f16_sdwa v4, v54, v4 dst_sel:DWORD dst_unused:UNUSED_PAD src0_sel:WORD_1 src1_sel:DWORD
	v_fma_f16 v2, v54, v2, -v4
	v_pack_b32_f16 v1, v1, v2
	ds_write_b32 v52, v1 offset:1872
	s_waitcnt vmcnt(19)
	v_lshrrev_b32_e32 v1, 16, v6
	s_waitcnt vmcnt(18)
	v_mul_f16_sdwa v2, v53, v1 dst_sel:DWORD dst_unused:UNUSED_PAD src0_sel:WORD_1 src1_sel:DWORD
	v_mul_f16_sdwa v4, v53, v6 dst_sel:DWORD dst_unused:UNUSED_PAD src0_sel:WORD_1 src1_sel:DWORD
	v_fma_f16 v2, v53, v6, v2
	v_fma_f16 v1, v53, v1, -v4
	v_pack_b32_f16 v1, v2, v1
	ds_write2_b32 v52, v0, v1 offset1:78
	s_waitcnt vmcnt(17)
	v_lshrrev_b32_e32 v0, 16, v7
	s_waitcnt vmcnt(16)
	v_mul_f16_sdwa v1, v51, v0 dst_sel:DWORD dst_unused:UNUSED_PAD src0_sel:WORD_1 src1_sel:DWORD
	v_mul_f16_sdwa v2, v51, v7 dst_sel:DWORD dst_unused:UNUSED_PAD src0_sel:WORD_1 src1_sel:DWORD
	v_fma_f16 v1, v51, v7, v1
	v_fma_f16 v0, v51, v0, -v2
	v_pack_b32_f16 v1, v1, v0
	s_waitcnt vmcnt(15)
	v_lshrrev_b32_e32 v0, 16, v8
	s_waitcnt vmcnt(14)
	v_mul_f16_sdwa v2, v50, v0 dst_sel:DWORD dst_unused:UNUSED_PAD src0_sel:WORD_1 src1_sel:DWORD
	v_mul_f16_sdwa v4, v50, v8 dst_sel:DWORD dst_unused:UNUSED_PAD src0_sel:WORD_1 src1_sel:DWORD
	v_fma_f16 v2, v50, v8, v2
	v_fma_f16 v0, v50, v0, -v4
	v_pack_b32_f16 v2, v2, v0
	;; [unrolled: 8-line block ×3, first 2 shown]
	v_add_u32_e32 v0, 0x800, v52
	ds_write2_b32 v0, v1, v4 offset0:34 offset1:112
	s_waitcnt vmcnt(11)
	v_lshrrev_b32_e32 v1, 16, v11
	s_waitcnt vmcnt(10)
	v_mul_f16_sdwa v4, v48, v1 dst_sel:DWORD dst_unused:UNUSED_PAD src0_sel:WORD_1 src1_sel:DWORD
	v_mul_f16_sdwa v6, v48, v11 dst_sel:DWORD dst_unused:UNUSED_PAD src0_sel:WORD_1 src1_sel:DWORD
	v_fma_f16 v4, v48, v11, v4
	v_fma_f16 v1, v48, v1, -v6
	v_pack_b32_f16 v1, v4, v1
	ds_write2_b32 v52, v2, v1 offset0:156 offset1:234
	s_waitcnt vmcnt(9)
	v_lshrrev_b32_e32 v1, 16, v20
	s_waitcnt vmcnt(8)
	v_mul_f16_sdwa v2, v47, v1 dst_sel:DWORD dst_unused:UNUSED_PAD src0_sel:WORD_1 src1_sel:DWORD
	v_mul_f16_sdwa v4, v47, v20 dst_sel:DWORD dst_unused:UNUSED_PAD src0_sel:WORD_1 src1_sel:DWORD
	v_fma_f16 v2, v47, v20, v2
	v_fma_f16 v1, v47, v1, -v4
	v_pack_b32_f16 v2, v2, v1
	s_waitcnt vmcnt(5)
	v_lshrrev_b32_e32 v1, 16, v10
	v_mul_f16_sdwa v4, v46, v1 dst_sel:DWORD dst_unused:UNUSED_PAD src0_sel:WORD_1 src1_sel:DWORD
	v_mul_f16_sdwa v6, v46, v10 dst_sel:DWORD dst_unused:UNUSED_PAD src0_sel:WORD_1 src1_sel:DWORD
	v_fma_f16 v4, v46, v10, v4
	v_fma_f16 v1, v46, v1, -v6
	v_pack_b32_f16 v4, v4, v1
	s_waitcnt vmcnt(4)
	v_lshrrev_b32_e32 v1, 16, v24
	s_waitcnt vmcnt(3)
	v_mul_f16_sdwa v6, v45, v1 dst_sel:DWORD dst_unused:UNUSED_PAD src0_sel:WORD_1 src1_sel:DWORD
	v_mul_f16_sdwa v7, v45, v24 dst_sel:DWORD dst_unused:UNUSED_PAD src0_sel:WORD_1 src1_sel:DWORD
	v_fma_f16 v6, v45, v24, v6
	v_fma_f16 v1, v45, v1, -v7
	v_pack_b32_f16 v6, v6, v1
	v_add_u32_e32 v1, 0xa00, v52
	ds_write2_b32 v1, v2, v6 offset0:62 offset1:140
	s_waitcnt vmcnt(2)
	v_lshrrev_b32_e32 v2, 16, v5
	v_mul_f16_sdwa v6, v44, v2 dst_sel:DWORD dst_unused:UNUSED_PAD src0_sel:WORD_1 src1_sel:DWORD
	v_fma_f16 v6, v44, v5, v6
	v_mul_f16_sdwa v5, v44, v5 dst_sel:DWORD dst_unused:UNUSED_PAD src0_sel:WORD_1 src1_sel:DWORD
	v_fma_f16 v2, v44, v2, -v5
	v_pack_b32_f16 v5, v6, v2
	v_add_u32_e32 v2, 0x400, v52
	ds_write2_b32 v2, v4, v5 offset0:56 offset1:134
	s_waitcnt vmcnt(1)
	v_lshrrev_b32_e32 v4, 16, v3
	v_lshl_add_u64 v[20:21], v[12:13], 0, s[2:3]
	s_mov_b64 s[2:3], 0x186
	v_lshl_add_u64 v[24:25], v[12:13], 0, s[2:3]
	v_lshl_add_u32 v60, v20, 3, v56
	v_lshl_add_u32 v61, v24, 3, v56
	s_movk_i32 s2, 0xfc
	s_waitcnt vmcnt(0)
	v_mul_f16_sdwa v5, v15, v4 dst_sel:DWORD dst_unused:UNUSED_PAD src0_sel:WORD_1 src1_sel:DWORD
	v_fma_f16 v5, v15, v3, v5
	v_mul_f16_sdwa v3, v15, v3 dst_sel:DWORD dst_unused:UNUSED_PAD src0_sel:WORD_1 src1_sel:DWORD
	v_fma_f16 v3, v15, v4, -v3
	v_pack_b32_f16 v3, v5, v3
	ds_write_b32 v52, v3 offset:3432
	v_add_u32_e32 v3, 0x600, v52
	s_waitcnt lgkmcnt(0)
	s_barrier
	ds_read2_b32 v[4:5], v52 offset1:78
	ds_read2_b32 v[6:7], v3 offset0:84 offset1:162
	ds_read2_b32 v[10:11], v52 offset0:156 offset1:234
	;; [unrolled: 1-line block ×5, first 2 shown]
	s_waitcnt lgkmcnt(0)
	v_pk_add_f16 v7, v5, v7 neg_lo:[0,1] neg_hi:[0,1]
	v_pk_add_f16 v9, v4, v6 neg_lo:[0,1] neg_hi:[0,1]
	v_pk_fma_f16 v6, v5, 2.0, v7 op_sel_hi:[1,0,1] neg_lo:[0,0,1] neg_hi:[0,0,1]
	v_pk_add_f16 v5, v10, v28 neg_lo:[0,1] neg_hi:[0,1]
	v_pk_add_f16 v29, v11, v29 neg_lo:[0,1] neg_hi:[0,1]
	v_pk_fma_f16 v8, v4, 2.0, v9 op_sel_hi:[1,0,1] neg_lo:[0,0,1] neg_hi:[0,0,1]
	v_pk_fma_f16 v4, v10, 2.0, v5 op_sel_hi:[1,0,1] neg_lo:[0,0,1] neg_hi:[0,0,1]
	;; [unrolled: 1-line block ×3, first 2 shown]
	v_pk_add_f16 v11, v30, v32 neg_lo:[0,1] neg_hi:[0,1]
	v_pk_add_f16 v33, v31, v33 neg_lo:[0,1] neg_hi:[0,1]
	v_pk_fma_f16 v10, v30, 2.0, v11 op_sel_hi:[1,0,1] neg_lo:[0,0,1] neg_hi:[0,0,1]
	v_pk_fma_f16 v32, v31, 2.0, v33 op_sel_hi:[1,0,1] neg_lo:[0,0,1] neg_hi:[0,0,1]
	s_barrier
	ds_write_b64 v40, v[8:9]
	ds_write_b64 v41, v[6:7]
	;; [unrolled: 1-line block ×6, first 2 shown]
	v_lshlrev_b32_e32 v4, 2, v27
	s_waitcnt lgkmcnt(0)
	s_barrier
	global_load_dword v43, v4, s[10:11]
	ds_read2_b32 v[4:5], v52 offset1:78
	ds_read2_b32 v[6:7], v3 offset0:84 offset1:162
	ds_read2_b32 v[8:9], v52 offset0:156 offset1:234
	;; [unrolled: 1-line block ×5, first 2 shown]
	s_waitcnt lgkmcnt(0)
	s_barrier
	v_lshrrev_b32_e32 v3, 16, v4
	v_lshrrev_b32_e32 v21, 16, v6
	s_waitcnt vmcnt(0)
	v_mul_f16_sdwa v17, v21, v43 dst_sel:DWORD dst_unused:UNUSED_PAD src0_sel:DWORD src1_sel:WORD_1
	v_fma_f16 v17, v6, v43, -v17
	v_mul_f16_sdwa v6, v6, v43 dst_sel:DWORD dst_unused:UNUSED_PAD src0_sel:DWORD src1_sel:WORD_1
	v_fma_f16 v6, v21, v43, v6
	v_sub_f16_e32 v29, v4, v17
	v_sub_f16_e32 v25, v3, v6
	v_fma_f16 v28, v4, 2.0, -v29
	v_fma_f16 v21, v3, 2.0, -v25
	v_and_or_b32 v3, v19, s2, v27
	v_lshl_add_u32 v62, v3, 2, v56
	v_pack_b32_f16 v3, v28, v21
	v_pack_b32_f16 v4, v29, v25
	ds_write2_b32 v62, v3, v4 offset1:2
	v_lshrrev_b32_e32 v3, 16, v7
	v_mul_f16_sdwa v4, v3, v43 dst_sel:DWORD dst_unused:UNUSED_PAD src0_sel:DWORD src1_sel:WORD_1
	v_fma_f16 v4, v7, v43, -v4
	v_sub_f16_e32 v31, v5, v4
	v_fma_f16 v30, v5, 2.0, -v31
	v_lshrrev_b32_e32 v4, 16, v5
	v_mul_f16_sdwa v5, v7, v43 dst_sel:DWORD dst_unused:UNUSED_PAD src0_sel:DWORD src1_sel:WORD_1
	v_fma_f16 v3, v3, v43, v5
	v_lshlrev_b32_e32 v17, 1, v22
	v_sub_f16_e32 v68, v4, v3
	s_movk_i32 s2, 0x1fc
	v_fma_f16 v58, v4, 2.0, -v68
	v_and_or_b32 v3, v17, s2, v27
	v_lshl_add_u32 v63, v3, 2, v56
	v_pack_b32_f16 v3, v30, v58
	v_pack_b32_f16 v4, v31, v68
	ds_write2_b32 v63, v3, v4 offset1:2
	v_lshrrev_b32_e32 v3, 16, v10
	v_mul_f16_sdwa v4, v10, v43 dst_sel:DWORD dst_unused:UNUSED_PAD src0_sel:DWORD src1_sel:WORD_1
	v_fma_f16 v4, v3, v43, v4
	v_mul_f16_sdwa v3, v3, v43 dst_sel:DWORD dst_unused:UNUSED_PAD src0_sel:DWORD src1_sel:WORD_1
	v_fma_f16 v3, v10, v43, -v3
	v_lshrrev_b32_e32 v5, 16, v8
	v_sub_f16_e32 v70, v5, v4
	v_sub_f16_e32 v33, v8, v3
	s_movk_i32 s2, 0x3fc
	v_lshlrev_b32_e32 v3, 1, v16
	v_fma_f16 v32, v8, 2.0, -v33
	v_fma_f16 v74, v5, 2.0, -v70
	v_and_or_b32 v3, v3, s2, v27
	v_lshl_add_u32 v64, v3, 2, v56
	v_pack_b32_f16 v3, v32, v74
	v_pack_b32_f16 v4, v33, v70
	ds_write2_b32 v64, v3, v4 offset1:2
	v_lshrrev_b32_e32 v3, 16, v11
	v_mul_f16_sdwa v4, v3, v43 dst_sel:DWORD dst_unused:UNUSED_PAD src0_sel:DWORD src1_sel:WORD_1
	v_fma_f16 v4, v11, v43, -v4
	v_mul_f16_sdwa v5, v11, v43 dst_sel:DWORD dst_unused:UNUSED_PAD src0_sel:DWORD src1_sel:WORD_1
	v_sub_f16_e32 v35, v9, v4
	v_lshrrev_b32_e32 v4, 16, v9
	v_fma_f16 v3, v3, v43, v5
	v_sub_f16_e32 v77, v4, v3
	v_lshlrev_b32_e32 v3, 1, v18
	v_fma_f16 v34, v9, 2.0, -v35
	v_fma_f16 v76, v4, 2.0, -v77
	v_and_or_b32 v3, v3, s2, v27
	v_lshl_add_u32 v65, v3, 2, v56
	v_pack_b32_f16 v3, v34, v76
	v_pack_b32_f16 v4, v35, v77
	ds_write2_b32 v65, v3, v4 offset1:2
	v_lshrrev_b32_e32 v3, 16, v72
	v_mul_f16_sdwa v4, v72, v43 dst_sel:DWORD dst_unused:UNUSED_PAD src0_sel:DWORD src1_sel:WORD_1
	v_fma_f16 v4, v3, v43, v4
	v_mul_f16_sdwa v3, v3, v43 dst_sel:DWORD dst_unused:UNUSED_PAD src0_sel:DWORD src1_sel:WORD_1
	v_fma_f16 v3, v72, v43, -v3
	v_lshrrev_b32_e32 v5, 16, v66
	v_sub_f16_e32 v79, v5, v4
	v_sub_f16_e32 v37, v66, v3
	v_lshlrev_b32_e32 v3, 1, v20
	v_fma_f16 v36, v66, 2.0, -v37
	v_fma_f16 v78, v5, 2.0, -v79
	v_and_or_b32 v3, v3, s2, v27
	v_lshl_add_u32 v66, v3, 2, v56
	v_pack_b32_f16 v3, v36, v78
	v_pack_b32_f16 v4, v37, v79
	ds_write2_b32 v66, v3, v4 offset1:2
	v_lshrrev_b32_e32 v3, 16, v73
	v_mul_f16_sdwa v5, v73, v43 dst_sel:DWORD dst_unused:UNUSED_PAD src0_sel:DWORD src1_sel:WORD_1
	v_mul_f16_sdwa v4, v3, v43 dst_sel:DWORD dst_unused:UNUSED_PAD src0_sel:DWORD src1_sel:WORD_1
	v_fma_f16 v3, v3, v43, v5
	s_movk_i32 s2, 0x7fc
	v_lshlrev_b32_e32 v5, 1, v24
	v_fma_f16 v4, v73, v43, -v4
	v_and_or_b32 v5, v5, s2, v27
	s_load_dwordx2 s[2:3], s[0:1], 0x38
	v_sub_f16_e32 v39, v67, v4
	v_lshrrev_b32_e32 v4, 16, v67
	v_sub_f16_e32 v80, v4, v3
	v_fma_f16 v38, v67, 2.0, -v39
	v_fma_f16 v81, v4, 2.0, -v80
	s_movk_i32 s0, 0x48
	v_lshl_add_u32 v67, v5, 2, v56
	v_pack_b32_f16 v3, v38, v81
	v_pack_b32_f16 v4, v39, v80
	v_mov_b32_e32 v27, v13
	v_cmp_gt_u16_e32 vcc, s0, v12
	ds_write2_b32 v67, v3, v4 offset1:2
	s_waitcnt lgkmcnt(0)
	s_barrier
	s_and_saveexec_b64 s[0:1], vcc
	s_cbranch_execz .LBB0_3
; %bb.2:
	ds_read2_b32 v[28:29], v52 offset1:72
	ds_read2_b32 v[30:31], v52 offset0:144 offset1:216
	ds_read2_b32 v[32:33], v2 offset0:32 offset1:104
	;; [unrolled: 1-line block ×5, first 2 shown]
	ds_read_b32 v83, v52 offset:3456
	s_waitcnt lgkmcnt(6)
	v_lshrrev_b32_e32 v21, 16, v28
	v_lshrrev_b32_e32 v25, 16, v29
	s_waitcnt lgkmcnt(5)
	v_lshrrev_b32_e32 v58, 16, v30
	v_lshrrev_b32_e32 v68, 16, v31
	;; [unrolled: 3-line block ×6, first 2 shown]
	s_waitcnt lgkmcnt(0)
	v_lshrrev_b32_e32 v84, 16, v83
.LBB0_3:
	s_or_b64 exec, exec, s[0:1]
	v_and_b32_e32 v57, 3, v12
	v_mul_u32_u24_e32 v0, 12, v57
	v_lshlrev_b32_e32 v69, 2, v0
	global_load_dwordx4 v[4:7], v69, s[10:11] offset:8
	global_load_dwordx4 v[0:3], v69, s[10:11] offset:24
	global_load_dwordx4 v[8:11], v69, s[10:11] offset:40
	s_movk_i32 s12, 0x3b15
	s_movk_i32 s13, 0x388b
	;; [unrolled: 1-line block ×3, first 2 shown]
	s_mov_b32 s15, 0xb5ac
	s_mov_b32 s16, 0xb9fd
	;; [unrolled: 1-line block ×9, first 2 shown]
	s_barrier
	s_waitcnt vmcnt(2)
	v_mul_f16_sdwa v71, v29, v4 dst_sel:DWORD dst_unused:UNUSED_PAD src0_sel:DWORD src1_sel:WORD_1
	v_mul_f16_sdwa v72, v58, v5 dst_sel:DWORD dst_unused:UNUSED_PAD src0_sel:DWORD src1_sel:WORD_1
	;; [unrolled: 1-line block ×3, first 2 shown]
	s_waitcnt vmcnt(1)
	v_mul_f16_sdwa v88, v33, v0 dst_sel:DWORD dst_unused:UNUSED_PAD src0_sel:DWORD src1_sel:WORD_1
	s_waitcnt vmcnt(0)
	v_mul_f16_sdwa v102, v83, v11 dst_sel:DWORD dst_unused:UNUSED_PAD src0_sel:DWORD src1_sel:WORD_1
	v_mul_f16_sdwa v69, v25, v4 dst_sel:DWORD dst_unused:UNUSED_PAD src0_sel:DWORD src1_sel:WORD_1
	v_mul_f16_sdwa v73, v30, v5 dst_sel:DWORD dst_unused:UNUSED_PAD src0_sel:DWORD src1_sel:WORD_1
	v_mul_f16_sdwa v75, v68, v6 dst_sel:DWORD dst_unused:UNUSED_PAD src0_sel:DWORD src1_sel:WORD_1
	v_mul_f16_sdwa v87, v70, v0 dst_sel:DWORD dst_unused:UNUSED_PAD src0_sel:DWORD src1_sel:WORD_1
	v_mul_f16_sdwa v99, v80, v10 dst_sel:DWORD dst_unused:UNUSED_PAD src0_sel:DWORD src1_sel:WORD_1
	v_mul_f16_sdwa v100, v39, v10 dst_sel:DWORD dst_unused:UNUSED_PAD src0_sel:DWORD src1_sel:WORD_1
	v_mul_f16_sdwa v101, v84, v11 dst_sel:DWORD dst_unused:UNUSED_PAD src0_sel:DWORD src1_sel:WORD_1
	v_fma_f16 v25, v25, v4, v71
	v_fma_f16 v71, v30, v5, -v72
	v_fma_f16 v30, v68, v6, v82
	v_fma_f16 v68, v70, v0, v88
	;; [unrolled: 1-line block ×3, first 2 shown]
	v_mul_f16_sdwa v89, v76, v1 dst_sel:DWORD dst_unused:UNUSED_PAD src0_sel:DWORD src1_sel:WORD_1
	v_mul_f16_sdwa v90, v34, v1 dst_sel:DWORD dst_unused:UNUSED_PAD src0_sel:DWORD src1_sel:WORD_1
	;; [unrolled: 1-line block ×10, first 2 shown]
	v_fma_f16 v69, v29, v4, -v69
	v_fma_f16 v29, v58, v5, v73
	v_fma_f16 v82, v39, v10, -v99
	v_fma_f16 v39, v80, v10, v100
	v_fma_f16 v83, v83, v11, -v101
	v_sub_f16_e32 v113, v25, v70
	v_mul_f16_sdwa v85, v74, v7 dst_sel:DWORD dst_unused:UNUSED_PAD src0_sel:DWORD src1_sel:WORD_1
	v_mul_f16_sdwa v86, v32, v7 dst_sel:DWORD dst_unused:UNUSED_PAD src0_sel:DWORD src1_sel:WORD_1
	v_fma_f16 v72, v31, v6, -v75
	v_fma_f16 v75, v34, v1, -v89
	v_fma_f16 v34, v76, v1, v90
	v_fma_f16 v76, v35, v2, -v91
	v_fma_f16 v35, v77, v2, v92
	;; [unrolled: 2-line block ×5, first 2 shown]
	v_add_f16_e32 v88, v69, v83
	v_sub_f16_e32 v95, v69, v83
	v_sub_f16_e32 v114, v29, v39
	v_mul_f16_e32 v84, 0xb770, v113
	v_fma_f16 v73, v32, v7, -v85
	v_fma_f16 v31, v74, v7, v86
	v_add_f16_e32 v109, v25, v70
	v_add_f16_e32 v89, v71, v82
	v_sub_f16_e32 v96, v71, v82
	v_sub_f16_e32 v116, v30, v38
	v_mul_f16_e32 v90, 0xb770, v95
	v_mul_f16_e32 v85, 0xba95, v114
	v_fma_f16 v32, v88, s12, v84
	v_fma_f16 v74, v33, v0, -v87
	v_add_f16_e32 v110, v29, v39
	v_add_f16_e32 v93, v72, v79
	v_sub_f16_e32 v97, v72, v79
	v_sub_f16_e32 v115, v31, v37
	v_mul_f16_e32 v91, 0xba95, v96
	v_mul_f16_e32 v86, 0xbbf1, v116
	v_fma_f16 v33, v109, s12, -v90
	v_fma_f16 v58, v89, s13, v85
	v_add_f16_e32 v32, v28, v32
	v_add_f16_e32 v108, v30, v38
	;; [unrolled: 1-line block ×3, first 2 shown]
	v_mul_f16_e32 v92, 0xbbf1, v97
	v_mul_f16_e32 v87, 0xbb7b, v115
	v_fma_f16 v80, v110, s13, -v91
	v_fma_f16 v81, v93, s14, v86
	v_add_f16_e32 v33, v21, v33
	v_add_f16_e32 v32, v58, v32
	v_sub_f16_e32 v103, v73, v78
	v_fma_f16 v98, v108, s14, -v92
	v_add_f16_e32 v33, v80, v33
	v_add_f16_e32 v32, v81, v32
	v_fma_f16 v58, v94, s15, v87
	v_add_f16_e32 v111, v31, v37
	v_mul_f16_e32 v99, 0xbb7b, v103
	v_sub_f16_e32 v118, v68, v36
	v_add_f16_e32 v33, v98, v33
	v_add_f16_e32 v32, v58, v32
	v_fma_f16 v58, v111, s15, -v99
	v_add_f16_e32 v102, v74, v77
	v_mul_f16_e32 v98, 0xb94e, v118
	v_sub_f16_e32 v106, v74, v77
	v_add_f16_e32 v33, v58, v33
	v_fma_f16 v58, v102, s16, v98
	v_add_f16_e32 v112, v68, v36
	v_mul_f16_e32 v101, 0xb94e, v106
	v_sub_f16_e32 v119, v34, v35
	v_add_f16_e32 v32, v58, v32
	v_fma_f16 v58, v112, s16, -v101
	v_add_f16_e32 v105, v75, v76
	v_mul_f16_e32 v100, 0xb3a8, v119
	v_sub_f16_e32 v107, v75, v76
	v_add_f16_e32 v33, v58, v33
	v_fma_f16 v58, v105, s17, v100
	v_add_f16_e32 v117, v34, v35
	v_mul_f16_e32 v104, 0xb3a8, v107
	v_add_f16_e32 v80, v58, v32
	v_fma_f16 v32, v117, s17, -v104
	v_add_f16_e32 v81, v32, v33
	v_lshl_add_u64 v[32:33], s[8:9], 0, v[26:27]
	v_lshrrev_b32_e32 v58, 2, v12
	v_mov_b32_e32 v27, 0
	s_and_saveexec_b64 s[0:1], vcc
	s_cbranch_execz .LBB0_5
; %bb.4:
	v_mul_f16_e32 v26, 0x388b, v109
	s_movk_i32 s26, 0x3a95
	v_fma_f16 v120, v95, s26, v26
	v_mul_f16_e32 v121, 0xb5ac, v110
	s_movk_i32 s24, 0x3b7b
	v_add_f16_e32 v120, v21, v120
	v_fma_f16 v122, v96, s24, v121
	v_add_f16_e32 v120, v122, v120
	v_mul_f16_e32 v122, 0xbbc4, v108
	s_movk_i32 s27, 0x33a8
	v_fma_f16 v123, v97, s27, v122
	v_add_f16_e32 v120, v123, v120
	v_mul_f16_e32 v123, 0xb9fd, v111
	v_fma_f16 v124, v103, s21, v123
	v_add_f16_e32 v120, v124, v120
	v_mul_f16_e32 v124, 0x2fb7, v112
	;; [unrolled: 3-line block ×4, first 2 shown]
	v_fma_f16 v127, v88, s13, v126
	v_mul_f16_e32 v128, 0xbb7b, v114
	v_add_f16_e32 v127, v28, v127
	v_fma_f16 v129, v89, s15, v128
	v_add_f16_e32 v127, v129, v127
	v_mul_f16_e32 v129, 0xb3a8, v116
	v_fma_f16 v130, v93, s17, v129
	v_add_f16_e32 v127, v130, v127
	v_mul_f16_e32 v130, 0x394e, v115
	;; [unrolled: 3-line block ×4, first 2 shown]
	v_fma_f16 v133, v105, s12, v132
	s_movk_i32 s25, 0x3bf1
	v_add_f16_e32 v127, v133, v127
	v_mul_f16_e32 v133, 0x2fb7, v109
	v_fma_f16 v134, v95, s25, v133
	v_mul_f16_e32 v135, 0xbbc4, v110
	v_add_f16_e32 v134, v21, v134
	v_fma_f16 v136, v96, s27, v135
	v_add_f16_e32 v134, v136, v134
	v_mul_f16_e32 v136, 0xb5ac, v108
	v_fma_f16 v137, v97, s19, v136
	v_add_f16_e32 v134, v137, v134
	v_mul_f16_e32 v137, 0x3b15, v111
	;; [unrolled: 3-line block ×3, first 2 shown]
	v_fma_f16 v139, v106, s26, v138
	s_movk_i32 s23, 0x394e
	v_add_f16_e32 v134, v139, v134
	v_mul_f16_e32 v139, 0xb9fd, v117
	v_fma_f16 v140, v107, s23, v139
	v_add_f16_e32 v134, v140, v134
	v_mul_f16_e32 v140, 0xbbf1, v113
	v_fma_f16 v141, v88, s14, v140
	v_mul_f16_e32 v142, 0xb3a8, v114
	v_add_f16_e32 v141, v28, v141
	v_fma_f16 v143, v89, s17, v142
	v_add_f16_e32 v141, v143, v141
	v_mul_f16_e32 v143, 0x3b7b, v116
	v_fma_f16 v144, v93, s15, v143
	v_add_f16_e32 v141, v144, v141
	v_mul_f16_e32 v144, 0x3770, v115
	v_fma_f16 v145, v94, s12, v144
	v_add_f16_e32 v141, v145, v141
	v_mul_f16_e32 v145, 0xba95, v118
	v_fma_f16 v146, v102, s13, v145
	v_add_f16_e32 v141, v146, v141
	v_mul_f16_e32 v146, 0xb94e, v119
	v_fma_f16 v147, v105, s16, v146
	v_add_f16_e32 v141, v147, v141
	v_mul_f16_e32 v147, 0xb5ac, v109
	v_fma_f16 v148, v95, s24, v147
	v_mul_f16_e32 v149, 0xb9fd, v110
	v_add_f16_e32 v148, v21, v148
	v_fma_f16 v150, v96, s21, v149
	v_add_f16_e32 v148, v150, v148
	v_mul_f16_e32 v150, 0x3b15, v108
	v_fma_f16 v151, v97, s28, v150
	v_add_f16_e32 v148, v151, v148
	v_mul_f16_e32 v151, 0x2fb7, v111
	v_fma_f16 v152, v103, s25, v151
	v_add_f16_e32 v148, v152, v148
	v_mul_f16_e32 v152, 0xbbc4, v112
	v_fma_f16 v153, v106, s20, v152
	;; [unrolled: 18-line block ×6, first 2 shown]
	v_add_f16_e32 v176, v181, v176
	v_mul_f16_e32 v181, 0x2fb7, v117
	v_fma_f16 v182, v107, s22, v181
	v_mul_f16_e32 v113, 0xb3a8, v113
	v_add_f16_e32 v176, v182, v176
	v_fma_f16 v182, v88, s17, v113
	v_mul_f16_e32 v114, 0x3770, v114
	v_fma_f16 v113, v88, s17, -v113
	v_add_f16_e32 v182, v28, v182
	v_fma_f16 v183, v89, s12, v114
	v_mul_f16_e32 v116, 0xb94e, v116
	v_add_f16_e32 v113, v28, v113
	v_fma_f16 v114, v89, s12, -v114
	v_add_f16_e32 v182, v183, v182
	v_fma_f16 v183, v93, s16, v116
	v_mul_f16_e32 v115, 0x3a95, v115
	v_add_f16_e32 v113, v114, v113
	;; [unrolled: 5-line block ×3, first 2 shown]
	v_fma_f16 v114, v94, s13, -v115
	v_fma_f16 v116, v95, s21, v161
	v_fma_f16 v147, v95, s19, v147
	;; [unrolled: 1-line block ×3, first 2 shown]
	v_add_f16_e32 v182, v183, v182
	v_fma_f16 v183, v102, s15, v118
	v_mul_f16_e32 v119, 0x3bf1, v119
	s_movk_i32 s28, 0x3770
	v_add_f16_e32 v113, v114, v113
	v_fma_f16 v114, v102, s15, -v118
	v_add_f16_e32 v116, v21, v116
	v_fma_f16 v118, v96, s25, v163
	v_add_f16_e32 v147, v21, v147
	v_fma_f16 v149, v96, s23, v149
	;; [unrolled: 2-line block ×4, first 2 shown]
	v_fma_f16 v115, v105, s14, -v119
	v_add_f16_e32 v116, v118, v116
	v_fma_f16 v119, v97, s18, v164
	v_add_f16_e32 v147, v149, v147
	v_fma_f16 v149, v97, s28, v150
	;; [unrolled: 2-line block ×12, first 2 shown]
	v_add_f16_e32 v113, v114, v113
	v_mul_f16_e32 v114, 0x3b15, v88
	v_add_f16_e32 v116, v164, v116
	v_fma_f16 v164, v88, s16, -v168
	v_add_f16_e32 v147, v149, v147
	v_fma_f16 v149, v88, s15, -v154
	;; [unrolled: 2-line block ×3, first 2 shown]
	v_fma_f16 v88, v88, s13, -v126
	v_add_f16_e32 v113, v115, v113
	v_mul_f16_e32 v115, 0x388b, v89
	v_fma_f16 v165, v89, s14, -v170
	v_fma_f16 v150, v89, s16, -v156
	;; [unrolled: 1-line block ×3, first 2 shown]
	v_add_f16_e32 v88, v28, v88
	v_fma_f16 v89, v89, s15, -v128
	v_add_f16_e32 v88, v89, v88
	v_fma_f16 v89, v93, s17, -v129
	;; [unrolled: 2-line block ×4, first 2 shown]
	v_mul_f16_e32 v109, 0x3b15, v109
	v_add_f16_e32 v88, v89, v88
	v_fma_f16 v89, v105, s12, -v132
	v_fma_f16 v175, v95, s20, v175
	v_fma_f16 v26, v95, s18, v26
	v_add_f16_e32 v88, v89, v88
	v_add_f16_e32 v89, v90, v109
	v_sub_f16_e32 v84, v114, v84
	v_add_f16_e32 v175, v21, v175
	v_add_f16_e32 v164, v28, v164
	;; [unrolled: 1-line block ×17, first 2 shown]
	v_mul_f16_e32 v110, 0x388b, v110
	v_add_f16_e32 v28, v28, v75
	v_add_f16_e32 v21, v21, v34
	v_mul_f16_e32 v118, 0x2fb7, v93
	v_mul_f16_e32 v108, 0x2fb7, v108
	v_add_f16_e32 v90, v91, v110
	v_sub_f16_e32 v85, v115, v85
	v_add_f16_e32 v28, v28, v76
	v_add_f16_e32 v21, v21, v35
	v_mul_f16_e32 v119, 0xb5ac, v94
	v_mul_f16_e32 v111, 0xb5ac, v111
	v_fma_f16 v95, v96, s19, v121
	v_add_f16_e32 v89, v90, v89
	v_add_f16_e32 v90, v92, v108
	v_add_f16_e32 v84, v85, v84
	v_sub_f16_e32 v85, v118, v86
	v_add_f16_e32 v28, v28, v77
	v_add_f16_e32 v21, v21, v36
	v_mul_f16_e32 v161, 0xb9fd, v102
	v_mul_f16_e32 v112, 0xb9fd, v112
	v_add_f16_e32 v135, v136, v135
	v_fma_f16 v136, v93, s15, -v143
	v_add_f16_e32 v26, v95, v26
	v_fma_f16 v95, v97, s20, v122
	v_add_f16_e32 v89, v90, v89
	v_add_f16_e32 v90, v99, v111
	;; [unrolled: 1-line block ×3, first 2 shown]
	v_sub_f16_e32 v85, v119, v87
	v_add_f16_e32 v28, v28, v78
	v_add_f16_e32 v21, v21, v37
	v_fma_f16 v177, v96, s28, v177
	v_mul_f16_e32 v163, 0xbbc4, v105
	v_mul_f16_e32 v117, 0xbbc4, v117
	v_add_f16_e32 v164, v165, v164
	v_fma_f16 v165, v93, s13, -v171
	v_add_f16_e32 v149, v150, v149
	v_fma_f16 v150, v93, s12, -v157
	;; [unrolled: 2-line block ×3, first 2 shown]
	v_add_f16_e32 v26, v95, v26
	v_fma_f16 v95, v103, s23, v123
	v_add_f16_e32 v89, v90, v89
	v_add_f16_e32 v90, v101, v112
	;; [unrolled: 1-line block ×3, first 2 shown]
	v_sub_f16_e32 v85, v161, v98
	v_add_f16_e32 v28, v28, v79
	v_add_f16_e32 v21, v21, v38
	;; [unrolled: 1-line block ×3, first 2 shown]
	v_fma_f16 v177, v97, s21, v178
	v_add_f16_e32 v164, v165, v164
	v_fma_f16 v165, v94, s17, -v172
	v_add_f16_e32 v149, v150, v149
	v_fma_f16 v150, v94, s14, -v158
	;; [unrolled: 2-line block ×3, first 2 shown]
	v_add_f16_e32 v26, v95, v26
	v_fma_f16 v95, v106, s25, v124
	v_add_f16_e32 v89, v90, v89
	v_add_f16_e32 v90, v104, v117
	;; [unrolled: 1-line block ×3, first 2 shown]
	v_sub_f16_e32 v85, v163, v100
	v_add_f16_e32 v28, v28, v82
	v_add_f16_e32 v21, v21, v39
	v_mul_u32_u24_e32 v25, 52, v58
	v_add_f16_e32 v175, v177, v175
	v_fma_f16 v177, v103, s26, v179
	v_add_f16_e32 v164, v165, v164
	v_fma_f16 v165, v102, s12, -v173
	v_add_f16_e32 v149, v150, v149
	v_fma_f16 v150, v102, s17, -v159
	;; [unrolled: 2-line block ×3, first 2 shown]
	v_add_f16_e32 v26, v95, v26
	v_fma_f16 v95, v107, s28, v125
	v_add_f16_e32 v89, v90, v89
	v_add_f16_e32 v84, v85, v84
	;; [unrolled: 1-line block ×4, first 2 shown]
	v_or_b32_e32 v25, v25, v57
	v_add_f16_e32 v175, v177, v175
	v_fma_f16 v177, v106, s19, v180
	v_add_f16_e32 v164, v165, v164
	v_fma_f16 v165, v105, s15, -v174
	v_add_f16_e32 v149, v150, v149
	v_fma_f16 v150, v105, s13, -v160
	v_add_f16_e32 v135, v136, v135
	v_add_f16_e32 v26, v95, v26
	v_lshl_add_u32 v25, v25, 2, v56
	v_pack_b32_f16 v21, v28, v21
	v_pack_b32_f16 v28, v84, v89
	v_add_f16_e32 v175, v177, v175
	v_fma_f16 v177, v107, s25, v181
	v_add_f16_e32 v164, v165, v164
	v_add_f16_e32 v149, v150, v149
	ds_write2_b32 v25, v21, v28 offset1:4
	v_pack_b32_f16 v21, v88, v26
	v_pack_b32_f16 v26, v135, v133
	v_add_f16_e32 v182, v183, v182
	v_add_f16_e32 v175, v177, v175
	ds_write2_b32 v25, v21, v26 offset0:8 offset1:12
	v_pack_b32_f16 v21, v149, v147
	v_pack_b32_f16 v26, v164, v116
	ds_write2_b32 v25, v21, v26 offset0:16 offset1:20
	v_pack_b32_f16 v21, v113, v175
	v_pack_b32_f16 v26, v182, v176
	;; [unrolled: 3-line block ×4, first 2 shown]
	s_mov_b32 s12, 0x5040100
	ds_write2_b32 v25, v21, v26 offset0:40 offset1:44
	v_perm_b32 v21, v81, v80, s12
	ds_write_b32 v25, v21 offset:192
.LBB0_5:
	s_or_b64 exec, exec, s[0:1]
	s_movk_i32 s0, 0xffcc
	s_mov_b32 s1, -1
	v_lshl_add_u64 v[28:29], v[12:13], 0, s[0:1]
	v_cmp_gt_u16_e64 s[0:1], 52, v12
	s_waitcnt lgkmcnt(0)
	s_barrier
	v_cndmask_b32_e64 v29, v29, 0, s[0:1]
	v_cndmask_b32_e64 v28, v28, v12, s[0:1]
	s_movk_i32 s0, 0x4f
	v_mul_lo_u16_sdwa v21, v22, s0 dst_sel:DWORD dst_unused:UNUSED_PAD src0_sel:BYTE_0 src1_sel:DWORD
	v_lshrrev_b16_e32 v26, 12, v21
	v_mul_lo_u16_sdwa v82, v16, s0 dst_sel:DWORD dst_unused:UNUSED_PAD src0_sel:BYTE_0 src1_sel:DWORD
	s_movk_i32 s0, 0x4ec5
	v_mul_lo_u16_e32 v21, 52, v26
	v_lshrrev_b16_e32 v76, 12, v82
	v_mul_u32_u24_sdwa v83, v18, s0 dst_sel:DWORD dst_unused:UNUSED_PAD src0_sel:WORD_0 src1_sel:DWORD
	v_mul_u32_u24_sdwa v35, v20, s0 dst_sel:DWORD dst_unused:UNUSED_PAD src0_sel:WORD_0 src1_sel:DWORD
	v_lshl_add_u64 v[30:31], v[28:29], 2, s[10:11]
	v_sub_u16_e32 v29, v22, v21
	v_mov_b32_e32 v21, 2
	v_mul_lo_u16_e32 v34, 52, v76
	v_lshrrev_b32_e32 v78, 20, v83
	v_lshrrev_b32_e32 v84, 20, v35
	v_lshlrev_b32_sdwa v25, v21, v29 dst_sel:DWORD dst_unused:UNUSED_PAD src0_sel:DWORD src1_sel:BYTE_0
	v_sub_u16_e32 v77, v16, v34
	v_mul_lo_u16_e32 v34, 52, v78
	v_mul_lo_u16_e32 v35, 52, v84
	v_sub_u16_e32 v79, v18, v34
	global_load_dword v70, v[30:31], off offset:200
	global_load_dword v73, v25, s[10:11] offset:200
	v_sub_u16_e32 v87, v20, v35
	v_mul_u32_u24_sdwa v30, v24, s0 dst_sel:DWORD dst_unused:UNUSED_PAD src0_sel:WORD_0 src1_sel:DWORD
	v_lshlrev_b32_sdwa v21, v21, v77 dst_sel:DWORD dst_unused:UNUSED_PAD src0_sel:DWORD src1_sel:BYTE_0
	v_lshlrev_b32_e32 v34, 2, v79
	v_lshlrev_b32_e32 v20, 2, v87
	v_lshrrev_b32_e32 v88, 20, v30
	global_load_dword v72, v21, s[10:11] offset:200
	global_load_dword v71, v34, s[10:11] offset:200
	;; [unrolled: 1-line block ×3, first 2 shown]
	v_mul_lo_u16_e32 v21, 52, v88
	v_sub_u16_e32 v89, v24, v21
	v_lshlrev_b32_e32 v20, 2, v89
	global_load_dword v68, v20, s[10:11] offset:200
	v_add_u32_e32 v35, 0x600, v52
	ds_read2_b32 v[20:21], v52 offset1:78
	ds_read2_b32 v[24:25], v52 offset0:156 offset1:234
	v_add_u32_e32 v85, 0x800, v52
	v_add_u32_e32 v86, 0x400, v52
	;; [unrolled: 1-line block ×3, first 2 shown]
	ds_read2_b32 v[30:31], v35 offset0:84 offset1:162
	ds_read2_b32 v[36:37], v85 offset0:112 offset1:190
	;; [unrolled: 1-line block ×4, first 2 shown]
	s_waitcnt lgkmcnt(5)
	v_lshrrev_b32_e32 v90, 16, v20
	s_waitcnt lgkmcnt(3)
	v_lshrrev_b32_e32 v94, 16, v30
	v_lshrrev_b32_e32 v95, 16, v31
	v_cmp_lt_u16_e64 s[0:1], 51, v12
	s_waitcnt lgkmcnt(0)
	v_lshrrev_b32_e32 v99, 16, v74
	v_lshrrev_b32_e32 v101, 16, v75
	;; [unrolled: 1-line block ×4, first 2 shown]
	s_barrier
	v_lshrrev_b32_e32 v100, 16, v39
	v_lshrrev_b32_e32 v92, 16, v24
	;; [unrolled: 1-line block ×4, first 2 shown]
	s_movk_i32 s12, 0x68
	v_lshrrev_b32_e32 v98, 16, v38
	v_lshlrev_b32_e32 v19, 2, v19
	s_mov_b32 s13, 0xbaee
	v_lshlrev_b32_e32 v17, 2, v17
	s_waitcnt vmcnt(5)
	v_mul_f16_sdwa v102, v94, v70 dst_sel:DWORD dst_unused:UNUSED_PAD src0_sel:DWORD src1_sel:WORD_1
	v_mul_f16_sdwa v103, v30, v70 dst_sel:DWORD dst_unused:UNUSED_PAD src0_sel:DWORD src1_sel:WORD_1
	v_fma_f16 v30, v30, v70, -v102
	s_waitcnt vmcnt(4)
	v_mul_f16_sdwa v102, v95, v73 dst_sel:DWORD dst_unused:UNUSED_PAD src0_sel:DWORD src1_sel:WORD_1
	v_fma_f16 v94, v94, v70, v103
	v_mul_f16_sdwa v103, v31, v73 dst_sel:DWORD dst_unused:UNUSED_PAD src0_sel:DWORD src1_sel:WORD_1
	v_fma_f16 v31, v31, v73, -v102
	v_sub_f16_e32 v30, v20, v30
	v_sub_f16_e32 v94, v90, v94
	v_fma_f16 v20, v20, 2.0, -v30
	s_waitcnt vmcnt(1)
	v_mul_f16_sdwa v108, v99, v69 dst_sel:DWORD dst_unused:UNUSED_PAD src0_sel:DWORD src1_sel:WORD_1
	v_mul_f16_sdwa v109, v74, v69 dst_sel:DWORD dst_unused:UNUSED_PAD src0_sel:DWORD src1_sel:WORD_1
	v_fma_f16 v74, v74, v69, -v108
	v_fma_f16 v90, v90, 2.0, -v94
	s_waitcnt vmcnt(0)
	v_mul_f16_sdwa v110, v101, v68 dst_sel:DWORD dst_unused:UNUSED_PAD src0_sel:DWORD src1_sel:WORD_1
	v_fma_f16 v102, v75, v68, -v110
	v_mul_f16_sdwa v75, v75, v68 dst_sel:DWORD dst_unused:UNUSED_PAD src0_sel:DWORD src1_sel:WORD_1
	v_fma_f16 v75, v101, v68, v75
	v_sub_f16_e32 v101, v38, v74
	v_mov_b32_e32 v74, 0x68
	v_cndmask_b32_e64 v74, 0, v74, s[0:1]
	v_add_u32_e32 v28, v28, v74
	v_fma_f16 v95, v95, v73, v103
	v_lshl_add_u32 v74, v28, 2, v56
	v_pack_b32_f16 v20, v20, v90
	v_pack_b32_f16 v28, v30, v94
	v_sub_f16_e32 v31, v21, v31
	v_sub_f16_e32 v95, v91, v95
	ds_write2_b32 v74, v20, v28 offset1:52
	v_mul_u32_u24_e32 v20, 0x68, v26
	v_mul_f16_sdwa v104, v96, v72 dst_sel:DWORD dst_unused:UNUSED_PAD src0_sel:DWORD src1_sel:WORD_1
	v_mul_f16_sdwa v105, v36, v72 dst_sel:DWORD dst_unused:UNUSED_PAD src0_sel:DWORD src1_sel:WORD_1
	v_fma_f16 v21, v21, 2.0, -v31
	v_fma_f16 v91, v91, 2.0, -v95
	v_add_u32_sdwa v20, v20, v29 dst_sel:DWORD dst_unused:UNUSED_PAD src0_sel:DWORD src1_sel:BYTE_0
	v_fma_f16 v36, v36, v72, -v104
	v_fma_f16 v96, v96, v72, v105
	v_sub_f16_e32 v103, v100, v75
	v_lshl_add_u32 v75, v20, 2, v56
	v_pack_b32_f16 v20, v21, v91
	v_pack_b32_f16 v21, v31, v95
	v_mul_f16_sdwa v106, v97, v71 dst_sel:DWORD dst_unused:UNUSED_PAD src0_sel:DWORD src1_sel:WORD_1
	v_mul_f16_sdwa v107, v37, v71 dst_sel:DWORD dst_unused:UNUSED_PAD src0_sel:DWORD src1_sel:WORD_1
	v_sub_f16_e32 v36, v24, v36
	v_sub_f16_e32 v96, v92, v96
	ds_write2_b32 v75, v20, v21 offset1:52
	v_mul_u32_u24_e32 v20, 0x68, v76
	v_fma_f16 v37, v37, v71, -v106
	v_fma_f16 v97, v97, v71, v107
	v_fma_f16 v24, v24, 2.0, -v36
	v_fma_f16 v92, v92, 2.0, -v96
	v_add_u32_sdwa v20, v20, v77 dst_sel:DWORD dst_unused:UNUSED_PAD src0_sel:DWORD src1_sel:BYTE_0
	v_sub_f16_e32 v37, v25, v37
	v_sub_f16_e32 v97, v93, v97
	v_lshl_add_u32 v76, v20, 2, v56
	v_pack_b32_f16 v20, v24, v92
	v_pack_b32_f16 v21, v36, v96
	v_fma_f16 v99, v99, v69, v109
	v_fma_f16 v25, v25, 2.0, -v37
	v_fma_f16 v93, v93, 2.0, -v97
	ds_write2_b32 v76, v20, v21 offset1:52
	v_mad_legacy_u16 v20, v78, s12, v79
	v_sub_f16_e32 v99, v98, v99
	v_lshl_add_u32 v77, v20, 2, v56
	v_pack_b32_f16 v20, v25, v93
	v_pack_b32_f16 v21, v37, v97
	v_fma_f16 v38, v38, 2.0, -v101
	v_fma_f16 v98, v98, 2.0, -v99
	ds_write2_b32 v77, v20, v21 offset1:52
	v_mad_legacy_u16 v20, v84, s12, v87
	v_sub_f16_e32 v102, v39, v102
	v_lshl_add_u32 v78, v20, 2, v56
	v_pack_b32_f16 v20, v38, v98
	v_pack_b32_f16 v21, v101, v99
	v_fma_f16 v39, v39, 2.0, -v102
	v_fma_f16 v100, v100, 2.0, -v103
	ds_write2_b32 v78, v20, v21 offset1:52
	v_mad_legacy_u16 v20, v88, s12, v89
	v_lshl_add_u32 v79, v20, 2, v56
	v_pack_b32_f16 v20, v39, v100
	v_pack_b32_f16 v21, v102, v103
	s_movk_i32 s0, 0xffe6
	ds_write2_b32 v79, v20, v21 offset1:52
	s_waitcnt lgkmcnt(0)
	s_barrier
	global_load_dwordx2 v[20:21], v19, s[10:11] offset:408
	s_mov_b32 s1, -1
	v_lshl_add_u64 v[24:25], v[12:13], 0, s[0:1]
	v_cmp_gt_u16_e64 s[0:1], 26, v12
	s_movk_i32 s12, 0x3aee
	s_nop 0
	v_cndmask_b32_e64 v29, v25, v23, s[0:1]
	v_cndmask_b32_e64 v28, v24, v22, s[0:1]
	v_lshl_add_u64 v[22:23], v[28:29], 3, s[10:11]
	global_load_dwordx2 v[22:23], v[22:23], off offset:408
	v_lshrrev_b16_e32 v29, 13, v82
	v_mul_lo_u16_e32 v13, 0x68, v29
	v_sub_u16_e32 v84, v16, v13
	v_mov_b32_e32 v13, 3
	v_lshlrev_b32_sdwa v13, v13, v84 dst_sel:DWORD dst_unused:UNUSED_PAD src0_sel:DWORD src1_sel:BYTE_0
	global_load_dwordx2 v[24:25], v13, s[10:11] offset:408
	v_lshrrev_b32_e32 v13, 21, v83
	v_mul_lo_u16_e32 v13, 0x68, v13
	v_sub_u16_e32 v87, v18, v13
	v_lshlrev_b16_e32 v26, 3, v87
	v_lshl_add_u64 v[26:27], s[10:11], 0, v[26:27]
	global_load_dwordx2 v[26:27], v[26:27], off offset:408
	ds_read2_b32 v[30:31], v52 offset1:78
	ds_read2_b32 v[36:37], v86 offset0:56 offset1:134
	ds_read2_b32 v[38:39], v85 offset0:112 offset1:190
	;; [unrolled: 1-line block ×5, first 2 shown]
	s_waitcnt lgkmcnt(0)
	v_lshrrev_b32_e32 v13, 16, v30
	v_lshrrev_b32_e32 v92, 16, v36
	;; [unrolled: 1-line block ×12, first 2 shown]
	s_barrier
	v_cmp_lt_u16_e64 s[0:1], 25, v12
	v_lshlrev_b32_e32 v16, 3, v16
	v_lshlrev_b32_e32 v18, 3, v18
	s_waitcnt vmcnt(3)
	v_mul_f16_sdwa v103, v92, v20 dst_sel:DWORD dst_unused:UNUSED_PAD src0_sel:DWORD src1_sel:WORD_1
	v_fma_f16 v103, v36, v20, -v103
	v_mul_f16_sdwa v36, v36, v20 dst_sel:DWORD dst_unused:UNUSED_PAD src0_sel:DWORD src1_sel:WORD_1
	v_fma_f16 v36, v92, v20, v36
	v_mul_f16_sdwa v92, v93, v21 dst_sel:DWORD dst_unused:UNUSED_PAD src0_sel:DWORD src1_sel:WORD_1
	v_fma_f16 v92, v38, v21, -v92
	v_mul_f16_sdwa v38, v38, v21 dst_sel:DWORD dst_unused:UNUSED_PAD src0_sel:DWORD src1_sel:WORD_1
	v_fma_f16 v38, v93, v21, v38
	v_add_f16_e32 v104, v103, v92
	s_waitcnt vmcnt(2)
	v_mul_f16_sdwa v93, v95, v22 dst_sel:DWORD dst_unused:UNUSED_PAD src0_sel:DWORD src1_sel:WORD_1
	v_fma_f16 v93, v37, v22, -v93
	v_mul_f16_sdwa v37, v37, v22 dst_sel:DWORD dst_unused:UNUSED_PAD src0_sel:DWORD src1_sel:WORD_1
	v_fma_f16 v37, v95, v22, v37
	v_mul_f16_sdwa v95, v96, v23 dst_sel:DWORD dst_unused:UNUSED_PAD src0_sel:DWORD src1_sel:WORD_1
	v_fma_f16 v95, v39, v23, -v95
	v_mul_f16_sdwa v39, v39, v23 dst_sel:DWORD dst_unused:UNUSED_PAD src0_sel:DWORD src1_sel:WORD_1
	v_fma_f16 v39, v96, v23, v39
	s_waitcnt vmcnt(1)
	v_mul_f16_sdwa v96, v98, v24 dst_sel:DWORD dst_unused:UNUSED_PAD src0_sel:DWORD src1_sel:WORD_1
	v_fma_f16 v96, v88, v24, -v96
	v_mul_f16_sdwa v88, v88, v24 dst_sel:DWORD dst_unused:UNUSED_PAD src0_sel:DWORD src1_sel:WORD_1
	v_fma_f16 v88, v98, v24, v88
	v_mul_f16_sdwa v98, v99, v25 dst_sel:DWORD dst_unused:UNUSED_PAD src0_sel:DWORD src1_sel:WORD_1
	v_fma_f16 v98, v90, v25, -v98
	v_mul_f16_sdwa v90, v90, v25 dst_sel:DWORD dst_unused:UNUSED_PAD src0_sel:DWORD src1_sel:WORD_1
	v_fma_f16 v90, v99, v25, v90
	;; [unrolled: 9-line block ×3, first 2 shown]
	v_add_f16_e32 v102, v30, v103
	v_fma_f16 v30, v104, -0.5, v30
	v_sub_f16_e32 v104, v36, v38
	v_fma_f16 v105, v104, s12, v30
	v_fma_f16 v30, v104, s13, v30
	v_add_f16_e32 v104, v13, v36
	v_add_f16_e32 v36, v36, v38
	;; [unrolled: 1-line block ×3, first 2 shown]
	v_fma_f16 v13, v36, -0.5, v13
	v_sub_f16_e32 v36, v103, v92
	v_add_f16_e32 v92, v93, v95
	v_add_f16_e32 v104, v104, v38
	v_fma_f16 v38, v36, s13, v13
	v_fma_f16 v13, v36, s12, v13
	v_add_f16_e32 v36, v31, v93
	v_fma_f16 v31, v92, -0.5, v31
	v_sub_f16_e32 v92, v37, v39
	v_fma_f16 v103, v92, s12, v31
	v_fma_f16 v31, v92, s13, v31
	v_add_f16_e32 v92, v94, v37
	v_add_f16_e32 v37, v37, v39
	;; [unrolled: 1-line block ×3, first 2 shown]
	v_fma_f16 v37, v37, -0.5, v94
	v_sub_f16_e32 v39, v93, v95
	v_add_f16_e32 v94, v96, v98
	v_fma_f16 v93, v39, s13, v37
	v_fma_f16 v37, v39, s12, v37
	v_add_f16_e32 v39, v82, v96
	v_fma_f16 v82, v94, -0.5, v82
	v_sub_f16_e32 v94, v88, v90
	v_add_f16_e32 v36, v36, v95
	v_fma_f16 v95, v94, s12, v82
	v_fma_f16 v94, v94, s13, v82
	v_add_f16_e32 v82, v97, v88
	v_add_f16_e32 v106, v82, v90
	;; [unrolled: 1-line block ×3, first 2 shown]
	v_fma_f16 v82, v82, -0.5, v97
	v_sub_f16_e32 v88, v96, v98
	v_fma_f16 v90, v88, s13, v82
	v_fma_f16 v88, v88, s12, v82
	v_add_f16_e32 v82, v83, v99
	v_add_f16_e32 v96, v82, v101
	;; [unrolled: 1-line block ×3, first 2 shown]
	v_fma_f16 v82, v82, -0.5, v83
	v_sub_f16_e32 v83, v89, v91
	v_pack_b32_f16 v13, v30, v13
	v_add_f16_e32 v39, v39, v98
	v_fma_f16 v97, v83, s12, v82
	v_fma_f16 v98, v83, s13, v82
	v_add_f16_e32 v82, v100, v89
	ds_write_b32 v52, v13 offset:832
	v_mov_b32_e32 v13, 0x138
	v_add_f16_e32 v107, v82, v91
	v_add_f16_e32 v82, v89, v91
	v_cndmask_b32_e64 v13, 0, v13, s[0:1]
	v_fma_f16 v82, v82, -0.5, v100
	v_sub_f16_e32 v83, v99, v101
	v_add_u32_e32 v13, v28, v13
	v_fma_f16 v89, v83, s13, v82
	v_fma_f16 v91, v83, s12, v82
	v_pack_b32_f16 v82, v102, v104
	v_pack_b32_f16 v38, v105, v38
	v_lshl_add_u32 v13, v13, 2, v56
	v_pack_b32_f16 v28, v36, v92
	v_pack_b32_f16 v30, v103, v93
	ds_write2_b32 v52, v82, v38 offset1:104
	ds_write2_b32 v13, v28, v30 offset1:104
	v_pack_b32_f16 v28, v31, v37
	ds_write_b32 v13, v28 offset:832
	v_mul_u32_u24_e32 v28, 0x138, v29
	v_add_u32_sdwa v28, v28, v84 dst_sel:DWORD dst_unused:UNUSED_PAD src0_sel:DWORD src1_sel:BYTE_0
	v_lshl_add_u32 v82, v28, 2, v56
	v_pack_b32_f16 v28, v39, v106
	v_pack_b32_f16 v29, v95, v90
	ds_write2_b32 v82, v28, v29 offset1:104
	v_pack_b32_f16 v28, v94, v88
	v_lshl_add_u32 v83, v87, 2, v56
	ds_write_b32 v82, v28 offset:832
	v_pack_b32_f16 v28, v96, v107
	v_pack_b32_f16 v29, v97, v89
	v_add_u32_e32 v30, 0x800, v83
	ds_write2_b32 v30, v28, v29 offset0:112 offset1:216
	v_pack_b32_f16 v28, v98, v91
	ds_write_b32 v83, v28 offset:3328
	s_waitcnt lgkmcnt(0)
	s_barrier
	global_load_dwordx2 v[28:29], v19, s[10:11] offset:1240
	global_load_dwordx2 v[30:31], v17, s[10:11] offset:1240
	s_add_u32 s0, s8, 0xea0
	global_load_dwordx2 v[16:17], v16, s[10:11] offset:1240
	s_addc_u32 s1, s9, 0
	global_load_dwordx2 v[18:19], v18, s[10:11] offset:1240
	ds_read2_b32 v[36:37], v52 offset1:78
	ds_read2_b32 v[38:39], v86 offset0:56 offset1:134
	ds_read2_b32 v[88:89], v85 offset0:112 offset1:190
	;; [unrolled: 1-line block ×5, first 2 shown]
	s_waitcnt lgkmcnt(5)
	v_lshrrev_b32_e32 v84, 16, v36
	s_waitcnt lgkmcnt(4)
	v_lshrrev_b32_e32 v87, 16, v38
	;; [unrolled: 2-line block ×3, first 2 shown]
	v_lshrrev_b32_e32 v98, 16, v39
	v_lshrrev_b32_e32 v99, 16, v89
	s_waitcnt lgkmcnt(1)
	v_lshrrev_b32_e32 v101, 16, v92
	s_waitcnt lgkmcnt(0)
	v_lshrrev_b32_e32 v102, 16, v94
	v_lshrrev_b32_e32 v104, 16, v93
	;; [unrolled: 1-line block ×6, first 2 shown]
	s_waitcnt vmcnt(3)
	v_mul_f16_sdwa v106, v87, v28 dst_sel:DWORD dst_unused:UNUSED_PAD src0_sel:DWORD src1_sel:WORD_1
	v_fma_f16 v106, v38, v28, -v106
	v_mul_f16_sdwa v38, v38, v28 dst_sel:DWORD dst_unused:UNUSED_PAD src0_sel:DWORD src1_sel:WORD_1
	v_fma_f16 v38, v87, v28, v38
	v_mul_f16_sdwa v87, v96, v29 dst_sel:DWORD dst_unused:UNUSED_PAD src0_sel:DWORD src1_sel:WORD_1
	v_fma_f16 v87, v88, v29, -v87
	v_mul_f16_sdwa v88, v88, v29 dst_sel:DWORD dst_unused:UNUSED_PAD src0_sel:DWORD src1_sel:WORD_1
	v_fma_f16 v88, v96, v29, v88
	s_waitcnt vmcnt(2)
	v_mul_f16_sdwa v96, v98, v30 dst_sel:DWORD dst_unused:UNUSED_PAD src0_sel:DWORD src1_sel:WORD_1
	v_fma_f16 v96, v39, v30, -v96
	v_mul_f16_sdwa v39, v39, v30 dst_sel:DWORD dst_unused:UNUSED_PAD src0_sel:DWORD src1_sel:WORD_1
	v_fma_f16 v39, v98, v30, v39
	v_mul_f16_sdwa v98, v99, v31 dst_sel:DWORD dst_unused:UNUSED_PAD src0_sel:DWORD src1_sel:WORD_1
	v_fma_f16 v98, v89, v31, -v98
	v_mul_f16_sdwa v89, v89, v31 dst_sel:DWORD dst_unused:UNUSED_PAD src0_sel:DWORD src1_sel:WORD_1
	v_fma_f16 v89, v99, v31, v89
	;; [unrolled: 9-line block ×3, first 2 shown]
	s_waitcnt vmcnt(0)
	v_mul_f16_sdwa v102, v104, v18 dst_sel:DWORD dst_unused:UNUSED_PAD src0_sel:DWORD src1_sel:WORD_1
	v_fma_f16 v102, v93, v18, -v102
	v_mul_f16_sdwa v93, v93, v18 dst_sel:DWORD dst_unused:UNUSED_PAD src0_sel:DWORD src1_sel:WORD_1
	v_fma_f16 v93, v104, v18, v93
	v_mul_f16_sdwa v104, v105, v19 dst_sel:DWORD dst_unused:UNUSED_PAD src0_sel:DWORD src1_sel:WORD_1
	v_fma_f16 v104, v95, v19, -v104
	v_mul_f16_sdwa v95, v95, v19 dst_sel:DWORD dst_unused:UNUSED_PAD src0_sel:DWORD src1_sel:WORD_1
	v_add_f16_e32 v107, v106, v87
	v_fma_f16 v95, v105, v19, v95
	v_add_f16_e32 v105, v36, v106
	v_fma_f16 v36, v107, -0.5, v36
	v_sub_f16_e32 v107, v38, v88
	v_fma_f16 v108, v107, s12, v36
	v_fma_f16 v36, v107, s13, v36
	v_add_f16_e32 v107, v84, v38
	v_add_f16_e32 v38, v38, v88
	v_fma_f16 v38, v38, -0.5, v84
	v_sub_f16_e32 v84, v106, v87
	v_add_f16_e32 v105, v105, v87
	v_fma_f16 v87, v84, s13, v38
	v_fma_f16 v38, v84, s12, v38
	v_add_f16_e32 v84, v37, v96
	v_add_f16_e32 v107, v107, v88
	;; [unrolled: 1-line block ×4, first 2 shown]
	v_fma_f16 v37, v84, -0.5, v37
	v_sub_f16_e32 v84, v39, v89
	v_fma_f16 v106, v84, s12, v37
	v_fma_f16 v37, v84, s13, v37
	v_add_f16_e32 v84, v97, v39
	v_add_f16_e32 v39, v39, v89
	v_add_f16_e32 v109, v84, v89
	v_fma_f16 v39, v39, -0.5, v97
	v_sub_f16_e32 v84, v96, v98
	v_fma_f16 v89, v84, s13, v39
	v_fma_f16 v39, v84, s12, v39
	v_add_f16_e32 v84, v90, v99
	v_add_f16_e32 v96, v84, v101
	v_add_f16_e32 v84, v99, v101
	;; [unrolled: 7-line block ×5, first 2 shown]
	v_fma_f16 v84, v84, -0.5, v103
	v_sub_f16_e32 v93, v102, v104
	v_fma_f16 v95, v93, s13, v84
	v_fma_f16 v93, v93, s12, v84
	v_pack_b32_f16 v84, v108, v87
	ds_write_b32 v52, v84 offset:1248
	v_lshl_add_u32 v84, v12, 2, v56
	v_pack_b32_f16 v36, v36, v38
	v_pack_b32_f16 v102, v105, v107
	ds_write_b32 v84, v36 offset:2496
	v_pack_b32_f16 v36, v88, v109
	ds_write2_b32 v52, v102, v36 offset1:78
	v_pack_b32_f16 v36, v106, v89
	ds_write_b32 v84, v36 offset:1560
	v_pack_b32_f16 v36, v37, v39
	ds_write_b32 v84, v36 offset:2808
	v_pack_b32_f16 v36, v96, v98
	v_pack_b32_f16 v39, v99, v101
	;; [unrolled: 1-line block ×3, first 2 shown]
	ds_write2_b32 v52, v36, v39 offset0:156 offset1:234
	v_pack_b32_f16 v36, v100, v95
	v_pack_b32_f16 v38, v90, v92
	ds_write2_b32 v35, v37, v36 offset0:84 offset1:162
	v_pack_b32_f16 v36, v91, v93
	ds_write2_b32 v34, v38, v36 offset0:12 offset1:90
	s_waitcnt lgkmcnt(0)
	s_barrier
	global_load_dword v38, v[32:33], off offset:3744
	v_lshlrev_b32_e32 v36, 2, v12
	global_load_dword v39, v36, s[0:1] offset:1872
	global_load_dword v87, v36, s[0:1] offset:312
	;; [unrolled: 1-line block ×11, first 2 shown]
	ds_read2_b32 v[32:33], v52 offset1:78
	ds_read2_b32 v[36:37], v35 offset0:84 offset1:162
	s_waitcnt lgkmcnt(1)
	v_lshrrev_b32_e32 v97, 16, v32
	s_waitcnt vmcnt(11)
	v_mul_f16_sdwa v98, v97, v38 dst_sel:DWORD dst_unused:UNUSED_PAD src0_sel:DWORD src1_sel:WORD_1
	v_fma_f16 v98, v32, v38, -v98
	v_mul_f16_sdwa v32, v32, v38 dst_sel:DWORD dst_unused:UNUSED_PAD src0_sel:DWORD src1_sel:WORD_1
	v_fma_f16 v32, v97, v38, v32
	s_waitcnt lgkmcnt(0)
	v_lshrrev_b32_e32 v38, 16, v36
	s_waitcnt vmcnt(10)
	v_mul_f16_sdwa v97, v38, v39 dst_sel:DWORD dst_unused:UNUSED_PAD src0_sel:DWORD src1_sel:WORD_1
	v_fma_f16 v97, v36, v39, -v97
	v_mul_f16_sdwa v36, v36, v39 dst_sel:DWORD dst_unused:UNUSED_PAD src0_sel:DWORD src1_sel:WORD_1
	v_fma_f16 v36, v38, v39, v36
	v_lshrrev_b32_e32 v38, 16, v33
	s_waitcnt vmcnt(9)
	v_mul_f16_sdwa v39, v38, v87 dst_sel:DWORD dst_unused:UNUSED_PAD src0_sel:DWORD src1_sel:WORD_1
	v_fma_f16 v39, v33, v87, -v39
	v_mul_f16_sdwa v33, v33, v87 dst_sel:DWORD dst_unused:UNUSED_PAD src0_sel:DWORD src1_sel:WORD_1
	v_fma_f16 v33, v38, v87, v33
	v_pack_b32_f16 v32, v98, v32
	v_pack_b32_f16 v33, v39, v33
	v_lshrrev_b32_e32 v38, 16, v37
	ds_write2_b32 v52, v32, v33 offset1:78
	s_waitcnt vmcnt(8)
	v_mul_f16_sdwa v32, v38, v88 dst_sel:DWORD dst_unused:UNUSED_PAD src0_sel:DWORD src1_sel:WORD_1
	v_fma_f16 v39, v37, v88, -v32
	ds_read2_b32 v[32:33], v52 offset0:156 offset1:234
	v_mul_f16_sdwa v37, v37, v88 dst_sel:DWORD dst_unused:UNUSED_PAD src0_sel:DWORD src1_sel:WORD_1
	v_fma_f16 v37, v38, v88, v37
	v_pack_b32_f16 v36, v97, v36
	v_pack_b32_f16 v37, v39, v37
	ds_write2_b32 v35, v36, v37 offset0:84 offset1:162
	ds_read2_b32 v[36:37], v85 offset0:112 offset1:190
	s_waitcnt lgkmcnt(2)
	v_lshrrev_b32_e32 v38, 16, v32
	s_waitcnt vmcnt(7)
	v_mul_f16_sdwa v39, v38, v89 dst_sel:DWORD dst_unused:UNUSED_PAD src0_sel:DWORD src1_sel:WORD_1
	v_fma_f16 v39, v32, v89, -v39
	v_mul_f16_sdwa v32, v32, v89 dst_sel:DWORD dst_unused:UNUSED_PAD src0_sel:DWORD src1_sel:WORD_1
	v_fma_f16 v32, v38, v89, v32
	s_waitcnt lgkmcnt(0)
	v_lshrrev_b32_e32 v38, 16, v36
	v_pack_b32_f16 v32, v39, v32
	s_waitcnt vmcnt(6)
	v_mul_f16_sdwa v39, v38, v90 dst_sel:DWORD dst_unused:UNUSED_PAD src0_sel:DWORD src1_sel:WORD_1
	v_fma_f16 v39, v36, v90, -v39
	v_mul_f16_sdwa v36, v36, v90 dst_sel:DWORD dst_unused:UNUSED_PAD src0_sel:DWORD src1_sel:WORD_1
	v_fma_f16 v36, v38, v90, v36
	v_lshrrev_b32_e32 v38, 16, v33
	v_pack_b32_f16 v36, v39, v36
	s_waitcnt vmcnt(5)
	v_mul_f16_sdwa v39, v38, v91 dst_sel:DWORD dst_unused:UNUSED_PAD src0_sel:DWORD src1_sel:WORD_1
	v_fma_f16 v39, v33, v91, -v39
	v_mul_f16_sdwa v33, v33, v91 dst_sel:DWORD dst_unused:UNUSED_PAD src0_sel:DWORD src1_sel:WORD_1
	v_fma_f16 v33, v38, v91, v33
	v_pack_b32_f16 v33, v39, v33
	v_lshrrev_b32_e32 v38, 16, v37
	ds_write2_b32 v52, v32, v33 offset0:156 offset1:234
	s_waitcnt vmcnt(4)
	v_mul_f16_sdwa v32, v38, v92 dst_sel:DWORD dst_unused:UNUSED_PAD src0_sel:DWORD src1_sel:WORD_1
	v_fma_f16 v39, v37, v92, -v32
	ds_read2_b32 v[32:33], v86 offset0:56 offset1:134
	v_mul_f16_sdwa v37, v37, v92 dst_sel:DWORD dst_unused:UNUSED_PAD src0_sel:DWORD src1_sel:WORD_1
	v_fma_f16 v37, v38, v92, v37
	v_pack_b32_f16 v37, v39, v37
	ds_write2_b32 v85, v36, v37 offset0:112 offset1:190
	ds_read2_b32 v[36:37], v34 offset0:12 offset1:90
	s_waitcnt lgkmcnt(2)
	v_lshrrev_b32_e32 v38, 16, v32
	s_waitcnt vmcnt(3)
	v_mul_f16_sdwa v39, v38, v93 dst_sel:DWORD dst_unused:UNUSED_PAD src0_sel:DWORD src1_sel:WORD_1
	v_fma_f16 v39, v32, v93, -v39
	v_mul_f16_sdwa v32, v32, v93 dst_sel:DWORD dst_unused:UNUSED_PAD src0_sel:DWORD src1_sel:WORD_1
	v_fma_f16 v32, v38, v93, v32
	s_waitcnt lgkmcnt(0)
	v_lshrrev_b32_e32 v38, 16, v36
	v_pack_b32_f16 v32, v39, v32
	s_waitcnt vmcnt(2)
	v_mul_f16_sdwa v39, v38, v94 dst_sel:DWORD dst_unused:UNUSED_PAD src0_sel:DWORD src1_sel:WORD_1
	v_fma_f16 v39, v36, v94, -v39
	v_mul_f16_sdwa v36, v36, v94 dst_sel:DWORD dst_unused:UNUSED_PAD src0_sel:DWORD src1_sel:WORD_1
	v_fma_f16 v36, v38, v94, v36
	v_lshrrev_b32_e32 v38, 16, v33
	v_pack_b32_f16 v36, v39, v36
	s_waitcnt vmcnt(1)
	v_mul_f16_sdwa v39, v38, v95 dst_sel:DWORD dst_unused:UNUSED_PAD src0_sel:DWORD src1_sel:WORD_1
	v_fma_f16 v39, v33, v95, -v39
	v_mul_f16_sdwa v33, v33, v95 dst_sel:DWORD dst_unused:UNUSED_PAD src0_sel:DWORD src1_sel:WORD_1
	v_fma_f16 v33, v38, v95, v33
	v_pack_b32_f16 v33, v39, v33
	ds_write2_b32 v86, v32, v33 offset0:56 offset1:134
	v_lshrrev_b32_e32 v32, 16, v37
	s_waitcnt vmcnt(0)
	v_mul_f16_sdwa v33, v32, v96 dst_sel:DWORD dst_unused:UNUSED_PAD src0_sel:DWORD src1_sel:WORD_1
	v_fma_f16 v33, v37, v96, -v33
	v_mul_f16_sdwa v37, v37, v96 dst_sel:DWORD dst_unused:UNUSED_PAD src0_sel:DWORD src1_sel:WORD_1
	v_fma_f16 v32, v32, v96, v37
	v_pack_b32_f16 v32, v33, v32
	ds_write2_b32 v34, v36, v32 offset0:12 offset1:90
	s_waitcnt lgkmcnt(0)
	s_barrier
	ds_read2_b32 v[32:33], v52 offset1:78
	ds_read2_b32 v[36:37], v35 offset0:84 offset1:162
	ds_read2_b32 v[88:89], v52 offset0:156 offset1:234
	;; [unrolled: 1-line block ×3, first 2 shown]
	s_waitcnt lgkmcnt(2)
	v_pk_add_f16 v39, v32, v36 neg_lo:[0,1] neg_hi:[0,1]
	v_pk_add_f16 v37, v33, v37 neg_lo:[0,1] neg_hi:[0,1]
	v_pk_fma_f16 v38, v32, 2.0, v39 op_sel_hi:[1,0,1] neg_lo:[0,0,1] neg_hi:[0,0,1]
	v_pk_fma_f16 v36, v33, 2.0, v37 op_sel_hi:[1,0,1] neg_lo:[0,0,1] neg_hi:[0,0,1]
	ds_read2_b32 v[32:33], v86 offset0:56 offset1:134
	ds_read2_b32 v[92:93], v34 offset0:12 offset1:90
	s_waitcnt lgkmcnt(2)
	v_pk_add_f16 v91, v89, v91 neg_lo:[0,1] neg_hi:[0,1]
	v_pk_add_f16 v95, v88, v90 neg_lo:[0,1] neg_hi:[0,1]
	v_pk_fma_f16 v90, v89, 2.0, v91 op_sel_hi:[1,0,1] neg_lo:[0,0,1] neg_hi:[0,0,1]
	v_pk_fma_f16 v94, v88, 2.0, v95 op_sel_hi:[1,0,1] neg_lo:[0,0,1] neg_hi:[0,0,1]
	s_waitcnt lgkmcnt(0)
	v_pk_add_f16 v89, v32, v92 neg_lo:[0,1] neg_hi:[0,1]
	v_pk_add_f16 v93, v33, v93 neg_lo:[0,1] neg_hi:[0,1]
	v_pk_fma_f16 v88, v32, 2.0, v89 op_sel_hi:[1,0,1] neg_lo:[0,0,1] neg_hi:[0,0,1]
	v_pk_fma_f16 v92, v33, 2.0, v93 op_sel_hi:[1,0,1] neg_lo:[0,0,1] neg_hi:[0,0,1]
	s_barrier
	ds_write_b64 v40, v[38:39]
	ds_write_b64 v41, v[36:37]
	ds_write_b64 v42, v[94:95]
	ds_write_b64 v59, v[90:91]
	ds_write_b64 v60, v[88:89]
	ds_write_b64 v61, v[92:93]
	s_waitcnt lgkmcnt(0)
	s_barrier
	ds_read2_b32 v[36:37], v52 offset1:78
	ds_read2_b32 v[32:33], v35 offset0:84 offset1:162
	ds_read2_b32 v[38:39], v85 offset0:112 offset1:190
	;; [unrolled: 1-line block ×5, first 2 shown]
	s_waitcnt lgkmcnt(5)
	v_lshrrev_b32_e32 v42, 16, v36
	s_waitcnt lgkmcnt(4)
	v_lshrrev_b32_e32 v59, 16, v32
	v_mul_f16_sdwa v93, v43, v59 dst_sel:DWORD dst_unused:UNUSED_PAD src0_sel:WORD_1 src1_sel:DWORD
	v_lshrrev_b32_e32 v61, 16, v33
	v_fma_f16 v93, v43, v32, v93
	v_mul_f16_sdwa v32, v43, v32 dst_sel:DWORD dst_unused:UNUSED_PAD src0_sel:WORD_1 src1_sel:DWORD
	v_fma_f16 v32, v43, v59, -v32
	v_mul_f16_sdwa v59, v43, v61 dst_sel:DWORD dst_unused:UNUSED_PAD src0_sel:WORD_1 src1_sel:DWORD
	s_waitcnt lgkmcnt(3)
	v_lshrrev_b32_e32 v88, 16, v38
	v_fma_f16 v59, v43, v33, v59
	v_mul_f16_sdwa v33, v43, v33 dst_sel:DWORD dst_unused:UNUSED_PAD src0_sel:WORD_1 src1_sel:DWORD
	v_fma_f16 v95, v43, v61, -v33
	v_mul_f16_sdwa v33, v43, v88 dst_sel:DWORD dst_unused:UNUSED_PAD src0_sel:WORD_1 src1_sel:DWORD
	v_lshrrev_b32_e32 v89, 16, v39
	v_fma_f16 v97, v43, v38, v33
	v_mul_f16_sdwa v33, v43, v38 dst_sel:DWORD dst_unused:UNUSED_PAD src0_sel:WORD_1 src1_sel:DWORD
	v_fma_f16 v88, v43, v88, -v33
	v_mul_f16_sdwa v33, v43, v89 dst_sel:DWORD dst_unused:UNUSED_PAD src0_sel:WORD_1 src1_sel:DWORD
	s_waitcnt lgkmcnt(0)
	v_lshrrev_b32_e32 v90, 16, v34
	v_fma_f16 v101, v43, v39, v33
	v_mul_f16_sdwa v33, v43, v39 dst_sel:DWORD dst_unused:UNUSED_PAD src0_sel:WORD_1 src1_sel:DWORD
	v_fma_f16 v89, v43, v89, -v33
	v_mul_f16_sdwa v33, v43, v90 dst_sel:DWORD dst_unused:UNUSED_PAD src0_sel:WORD_1 src1_sel:DWORD
	v_lshrrev_b32_e32 v91, 16, v35
	v_fma_f16 v102, v43, v34, v33
	v_mul_f16_sdwa v33, v43, v34 dst_sel:DWORD dst_unused:UNUSED_PAD src0_sel:WORD_1 src1_sel:DWORD
	v_fma_f16 v103, v43, v90, -v33
	v_mul_f16_sdwa v33, v43, v91 dst_sel:DWORD dst_unused:UNUSED_PAD src0_sel:WORD_1 src1_sel:DWORD
	v_fma_f16 v104, v43, v35, v33
	v_mul_f16_sdwa v33, v43, v35 dst_sel:DWORD dst_unused:UNUSED_PAD src0_sel:WORD_1 src1_sel:DWORD
	v_lshrrev_b32_e32 v60, 16, v37
	v_fma_f16 v105, v43, v91, -v33
	v_sub_f16_e32 v33, v36, v93
	v_sub_f16_e32 v94, v42, v32
	v_lshrrev_b32_e32 v87, 16, v40
	v_fma_f16 v32, v36, 2.0, -v33
	v_fma_f16 v61, v42, 2.0, -v94
	v_sub_f16_e32 v39, v37, v59
	v_sub_f16_e32 v91, v60, v95
	v_lshrrev_b32_e32 v92, 16, v41
	v_fma_f16 v38, v37, 2.0, -v39
	v_fma_f16 v93, v60, 2.0, -v91
	v_sub_f16_e32 v37, v40, v97
	v_sub_f16_e32 v88, v87, v88
	v_pack_b32_f16 v59, v32, v61
	v_pack_b32_f16 v60, v33, v94
	v_lshrrev_b32_e32 v96, 16, v98
	v_fma_f16 v36, v40, 2.0, -v37
	v_fma_f16 v90, v87, 2.0, -v88
	v_sub_f16_e32 v35, v41, v101
	v_sub_f16_e32 v89, v92, v89
	s_barrier
	ds_write2_b32 v62, v59, v60 offset1:2
	v_pack_b32_f16 v59, v38, v93
	v_pack_b32_f16 v60, v39, v91
	v_lshrrev_b32_e32 v100, 16, v99
	v_fma_f16 v34, v41, 2.0, -v35
	v_fma_f16 v87, v92, 2.0, -v89
	v_sub_f16_e32 v41, v98, v102
	v_sub_f16_e32 v95, v96, v103
	ds_write2_b32 v63, v59, v60 offset1:2
	v_pack_b32_f16 v59, v36, v90
	v_pack_b32_f16 v60, v37, v88
	v_fma_f16 v40, v98, 2.0, -v41
	v_fma_f16 v92, v96, 2.0, -v95
	v_sub_f16_e32 v43, v99, v104
	v_sub_f16_e32 v97, v100, v105
	ds_write2_b32 v64, v59, v60 offset1:2
	v_pack_b32_f16 v59, v34, v87
	v_pack_b32_f16 v60, v35, v89
	v_fma_f16 v42, v99, 2.0, -v43
	v_fma_f16 v96, v100, 2.0, -v97
	ds_write2_b32 v65, v59, v60 offset1:2
	v_pack_b32_f16 v59, v40, v92
	v_pack_b32_f16 v60, v41, v95
	ds_write2_b32 v66, v59, v60 offset1:2
	v_pack_b32_f16 v59, v42, v96
	v_pack_b32_f16 v60, v43, v97
	ds_write2_b32 v67, v59, v60 offset1:2
	s_waitcnt lgkmcnt(0)
	s_barrier
	s_and_saveexec_b64 s[0:1], vcc
	s_cbranch_execz .LBB0_7
; %bb.6:
	v_add_u32_e32 v42, 0xa00, v52
	ds_read2_b32 v[32:33], v52 offset1:72
	ds_read2_b32 v[38:39], v52 offset0:144 offset1:216
	ds_read2_b32 v[36:37], v86 offset0:32 offset1:104
	;; [unrolled: 1-line block ×5, first 2 shown]
	ds_read_b32 v80, v52 offset:3456
	s_waitcnt lgkmcnt(6)
	v_lshrrev_b32_e32 v61, 16, v32
	v_lshrrev_b32_e32 v94, 16, v33
	s_waitcnt lgkmcnt(5)
	v_lshrrev_b32_e32 v93, 16, v38
	v_lshrrev_b32_e32 v91, 16, v39
	;; [unrolled: 3-line block ×6, first 2 shown]
	s_waitcnt lgkmcnt(0)
	v_lshrrev_b32_e32 v81, 16, v80
.LBB0_7:
	s_or_b64 exec, exec, s[0:1]
	v_add_u32_e32 v60, 0x270, v52
	v_add_u32_e32 v59, 0x3a8, v52
	s_barrier
	s_and_saveexec_b64 s[0:1], vcc
	s_cbranch_execz .LBB0_9
; %bb.8:
	v_mul_f16_sdwa v62, v4, v94 dst_sel:DWORD dst_unused:UNUSED_PAD src0_sel:WORD_1 src1_sel:DWORD
	v_mul_f16_sdwa v63, v11, v81 dst_sel:DWORD dst_unused:UNUSED_PAD src0_sel:WORD_1 src1_sel:DWORD
	v_fma_f16 v62, v4, v33, v62
	v_fma_f16 v63, v11, v80, v63
	v_mul_f16_sdwa v66, v11, v80 dst_sel:DWORD dst_unused:UNUSED_PAD src0_sel:WORD_1 src1_sel:DWORD
	v_mul_f16_sdwa v33, v4, v33 dst_sel:DWORD dst_unused:UNUSED_PAD src0_sel:WORD_1 src1_sel:DWORD
	;; [unrolled: 1-line block ×4, first 2 shown]
	v_sub_f16_e32 v64, v62, v63
	v_fma_f16 v11, v11, v81, -v66
	v_fma_f16 v4, v4, v94, -v33
	v_fma_f16 v67, v5, v38, v67
	v_fma_f16 v80, v10, v43, v80
	v_mul_f16_sdwa v43, v10, v43 dst_sel:DWORD dst_unused:UNUSED_PAD src0_sel:WORD_1 src1_sel:DWORD
	v_mul_f16_sdwa v38, v5, v38 dst_sel:DWORD dst_unused:UNUSED_PAD src0_sel:WORD_1 src1_sel:DWORD
	v_mul_f16_e32 v65, 0xba95, v64
	v_add_f16_e32 v33, v11, v4
	s_movk_i32 s8, 0x388b
	v_sub_f16_e32 v81, v67, v80
	v_fma_f16 v10, v10, v97, -v43
	v_fma_f16 v5, v5, v93, -v38
	v_fma_f16 v66, v33, s8, v65
	v_mul_f16_e32 v85, 0xbb7b, v81
	v_add_f16_e32 v38, v10, v5
	s_mov_b32 s10, 0xb5ac
	v_add_f16_e32 v66, v61, v66
	v_fma_f16 v43, v38, s10, v85
	v_add_f16_e32 v43, v43, v66
	v_mul_f16_sdwa v66, v6, v91 dst_sel:DWORD dst_unused:UNUSED_PAD src0_sel:WORD_1 src1_sel:DWORD
	v_mul_f16_sdwa v86, v9, v96 dst_sel:DWORD dst_unused:UNUSED_PAD src0_sel:WORD_1 src1_sel:DWORD
	v_fma_f16 v66, v6, v39, v66
	v_fma_f16 v86, v9, v42, v86
	v_mul_f16_sdwa v42, v9, v42 dst_sel:DWORD dst_unused:UNUSED_PAD src0_sel:WORD_1 src1_sel:DWORD
	v_mul_f16_sdwa v39, v6, v39 dst_sel:DWORD dst_unused:UNUSED_PAD src0_sel:WORD_1 src1_sel:DWORD
	v_sub_f16_e32 v93, v66, v86
	v_fma_f16 v9, v9, v96, -v42
	v_fma_f16 v6, v6, v91, -v39
	v_mul_f16_e32 v94, 0xb3a8, v93
	v_add_f16_e32 v39, v9, v6
	s_mov_b32 s12, 0xbbc4
	v_fma_f16 v42, v39, s12, v94
	v_add_f16_e32 v42, v42, v43
	v_mul_f16_sdwa v43, v7, v90 dst_sel:DWORD dst_unused:UNUSED_PAD src0_sel:WORD_1 src1_sel:DWORD
	v_mul_f16_sdwa v91, v8, v95 dst_sel:DWORD dst_unused:UNUSED_PAD src0_sel:WORD_1 src1_sel:DWORD
	v_fma_f16 v43, v7, v36, v43
	v_fma_f16 v91, v8, v41, v91
	v_mul_f16_sdwa v41, v8, v41 dst_sel:DWORD dst_unused:UNUSED_PAD src0_sel:WORD_1 src1_sel:DWORD
	v_mul_f16_sdwa v36, v7, v36 dst_sel:DWORD dst_unused:UNUSED_PAD src0_sel:WORD_1 src1_sel:DWORD
	v_sub_f16_e32 v96, v43, v91
	v_fma_f16 v8, v8, v95, -v41
	v_fma_f16 v7, v7, v90, -v36
	v_mul_f16_e32 v97, 0x394e, v96
	v_add_f16_e32 v36, v8, v7
	s_mov_b32 s14, 0xb9fd
	v_fma_f16 v41, v36, s14, v97
	v_add_f16_e32 v41, v41, v42
	v_mul_f16_sdwa v42, v0, v88 dst_sel:DWORD dst_unused:UNUSED_PAD src0_sel:WORD_1 src1_sel:DWORD
	v_mul_f16_sdwa v90, v3, v92 dst_sel:DWORD dst_unused:UNUSED_PAD src0_sel:WORD_1 src1_sel:DWORD
	v_fma_f16 v42, v0, v37, v42
	v_fma_f16 v90, v3, v40, v90
	v_mul_f16_sdwa v40, v3, v40 dst_sel:DWORD dst_unused:UNUSED_PAD src0_sel:WORD_1 src1_sel:DWORD
	v_mul_f16_sdwa v37, v0, v37 dst_sel:DWORD dst_unused:UNUSED_PAD src0_sel:WORD_1 src1_sel:DWORD
	v_sub_f16_e32 v95, v42, v90
	v_fma_f16 v3, v3, v92, -v40
	v_fma_f16 v0, v0, v88, -v37
	v_mul_f16_e32 v98, 0x3bf1, v95
	v_add_f16_e32 v37, v3, v0
	s_movk_i32 s15, 0x2fb7
	v_fma_f16 v40, v37, s15, v98
	v_add_f16_e32 v40, v40, v41
	v_mul_f16_sdwa v41, v1, v87 dst_sel:DWORD dst_unused:UNUSED_PAD src0_sel:WORD_1 src1_sel:DWORD
	v_mul_f16_sdwa v88, v2, v89 dst_sel:DWORD dst_unused:UNUSED_PAD src0_sel:WORD_1 src1_sel:DWORD
	v_fma_f16 v41, v1, v34, v41
	v_fma_f16 v88, v2, v35, v88
	v_mul_f16_sdwa v35, v2, v35 dst_sel:DWORD dst_unused:UNUSED_PAD src0_sel:WORD_1 src1_sel:DWORD
	v_mul_f16_sdwa v34, v1, v34 dst_sel:DWORD dst_unused:UNUSED_PAD src0_sel:WORD_1 src1_sel:DWORD
	v_sub_f16_e32 v92, v41, v88
	v_fma_f16 v2, v2, v89, -v35
	v_fma_f16 v1, v1, v87, -v34
	v_mul_f16_e32 v99, 0x3770, v92
	v_add_f16_e32 v34, v2, v1
	s_movk_i32 s16, 0x3b15
	v_fma_f16 v35, v34, s16, v99
	v_sub_f16_e32 v87, v4, v11
	v_add_f16_e32 v35, v35, v40
	v_add_f16_e32 v40, v63, v62
	v_mul_f16_e32 v89, 0xba95, v87
	v_sub_f16_e32 v102, v5, v10
	v_fma_f16 v100, v40, s8, -v89
	v_add_f16_e32 v101, v80, v67
	v_mul_f16_e32 v103, 0xbb7b, v102
	v_add_f16_e32 v100, v32, v100
	v_fma_f16 v104, v101, s10, -v103
	v_sub_f16_e32 v105, v6, v9
	v_add_f16_e32 v100, v104, v100
	v_add_f16_e32 v104, v86, v66
	v_mul_f16_e32 v106, 0xb3a8, v105
	v_fma_f16 v107, v104, s12, -v106
	v_sub_f16_e32 v108, v7, v8
	v_add_f16_e32 v100, v107, v100
	v_add_f16_e32 v107, v91, v43
	v_mul_f16_e32 v109, 0x394e, v108
	;; [unrolled: 5-line block ×4, first 2 shown]
	v_fma_f16 v116, v113, s16, -v115
	v_add_f16_e32 v100, v116, v100
	v_mul_f16_e32 v116, 0xbbf1, v64
	v_fma_f16 v117, v33, s15, v116
	v_mul_f16_e32 v118, 0xb3a8, v81
	v_add_f16_e32 v117, v61, v117
	v_fma_f16 v119, v38, s12, v118
	v_add_f16_e32 v117, v119, v117
	v_mul_f16_e32 v119, 0x3b7b, v93
	v_fma_f16 v120, v39, s10, v119
	v_add_f16_e32 v117, v120, v117
	v_mul_f16_e32 v120, 0x3770, v96
	;; [unrolled: 3-line block ×5, first 2 shown]
	v_fma_f16 v124, v40, s15, -v123
	v_mul_f16_e32 v125, 0xb3a8, v102
	v_add_f16_e32 v124, v32, v124
	v_fma_f16 v126, v101, s12, -v125
	v_add_f16_e32 v124, v126, v124
	v_mul_f16_e32 v126, 0x3b7b, v105
	v_fma_f16 v127, v104, s10, -v126
	v_add_f16_e32 v124, v127, v124
	v_mul_f16_e32 v127, 0x3770, v108
	;; [unrolled: 3-line block ×5, first 2 shown]
	v_fma_f16 v131, v33, s10, v130
	v_mul_f16_e32 v132, 0x394e, v81
	v_add_f16_e32 v131, v61, v131
	v_fma_f16 v133, v38, s14, v132
	v_add_f16_e32 v131, v133, v131
	v_mul_f16_e32 v133, 0x3770, v93
	v_fma_f16 v134, v39, s16, v133
	v_add_f16_e32 v131, v134, v131
	v_mul_f16_e32 v134, 0xbbf1, v96
	;; [unrolled: 3-line block ×5, first 2 shown]
	v_fma_f16 v138, v40, s10, -v137
	v_mul_f16_e32 v139, 0x394e, v102
	v_add_f16_e32 v138, v32, v138
	v_fma_f16 v140, v101, s14, -v139
	v_add_f16_e32 v138, v140, v138
	v_mul_f16_e32 v140, 0x3770, v105
	v_fma_f16 v141, v104, s16, -v140
	v_add_f16_e32 v138, v141, v138
	v_mul_f16_e32 v141, 0xbbf1, v108
	;; [unrolled: 3-line block ×5, first 2 shown]
	v_fma_f16 v145, v33, s14, v144
	v_mul_f16_e32 v146, 0x3bf1, v81
	v_add_f16_e32 v145, v61, v145
	v_fma_f16 v147, v38, s15, v146
	v_add_f16_e32 v145, v147, v145
	v_mul_f16_e32 v147, 0xba95, v93
	v_fma_f16 v148, v39, s8, v147
	v_add_f16_e32 v145, v148, v145
	v_mul_f16_e32 v148, 0x33a8, v96
	;; [unrolled: 3-line block ×5, first 2 shown]
	v_fma_f16 v152, v40, s14, -v151
	v_mul_f16_e32 v153, 0x3bf1, v102
	v_add_f16_e32 v152, v32, v152
	v_fma_f16 v154, v101, s15, -v153
	v_add_f16_e32 v152, v154, v152
	v_mul_f16_e32 v154, 0xba95, v105
	v_fma_f16 v155, v104, s8, -v154
	v_fma_f16 v65, v33, s8, -v65
	v_add_f16_e32 v152, v155, v152
	v_mul_f16_e32 v155, 0x33a8, v108
	v_add_f16_e32 v65, v61, v65
	v_fma_f16 v85, v38, s10, -v85
	v_fma_f16 v156, v107, s12, -v155
	v_add_f16_e32 v65, v85, v65
	v_fma_f16 v85, v39, s12, -v94
	v_add_f16_e32 v152, v156, v152
	v_mul_f16_e32 v156, 0x3770, v111
	v_add_f16_e32 v65, v85, v65
	v_fma_f16 v85, v36, s14, -v97
	v_fma_f16 v157, v110, s16, -v156
	v_add_f16_e32 v65, v85, v65
	;; [unrolled: 7-line block ×3, first 2 shown]
	v_fma_f16 v85, v40, s8, v89
	v_add_f16_e32 v152, v158, v152
	v_mul_f16_e32 v158, 0xb3a8, v64
	v_add_f16_e32 v85, v32, v85
	v_fma_f16 v89, v101, s10, v103
	v_fma_f16 v159, v33, s12, v158
	v_mul_f16_e32 v160, 0x3770, v81
	v_add_f16_e32 v85, v89, v85
	v_fma_f16 v89, v104, s12, v106
	v_add_f16_e32 v159, v61, v159
	v_fma_f16 v161, v38, s16, v160
	;; [unrolled: 2-line block ×3, first 2 shown]
	v_add_f16_e32 v159, v161, v159
	v_mul_f16_e32 v161, 0xb94e, v93
	v_add_f16_e32 v85, v89, v85
	v_fma_f16 v89, v110, s15, v112
	s_movk_i32 s21, 0x3770
	v_fma_f16 v162, v39, s14, v161
	v_fma_f16 v158, v33, s12, -v158
	v_fma_f16 v144, v33, s14, -v144
	;; [unrolled: 1-line block ×4, first 2 shown]
	v_add_f16_e32 v85, v89, v85
	v_fma_f16 v89, v113, s16, v115
	v_mul_f16_e32 v33, 0x3b15, v33
	s_movk_i32 s24, 0x3a95
	v_add_f16_e32 v159, v162, v159
	v_mul_f16_e32 v162, 0x3a95, v96
	v_add_f16_e32 v158, v61, v158
	v_fma_f16 v160, v38, s16, -v160
	v_add_f16_e32 v144, v61, v144
	v_fma_f16 v146, v38, s15, -v146
	;; [unrolled: 2-line block ×4, first 2 shown]
	v_add_f16_e32 v85, v89, v85
	v_fma_f16 v89, v64, s21, v33
	v_mul_f16_e32 v38, 0x388b, v38
	v_add_f16_e32 v4, v4, v61
	s_movk_i32 s19, 0x3bf1
	v_fma_f16 v163, v36, s8, v162
	v_add_f16_e32 v158, v160, v158
	v_fma_f16 v160, v39, s14, -v161
	v_add_f16_e32 v144, v146, v144
	v_fma_f16 v146, v39, s8, -v147
	v_add_f16_e32 v130, v132, v130
	v_fma_f16 v132, v39, s16, -v133
	v_add_f16_e32 v116, v118, v116
	v_fma_f16 v118, v39, s10, -v119
	v_add_f16_e32 v89, v61, v89
	v_fma_f16 v94, v81, s24, v38
	v_mul_f16_e32 v39, 0x2fb7, v39
	v_add_f16_e32 v4, v5, v4
	s_movk_i32 s22, 0x3b7b
	v_add_f16_e32 v159, v163, v159
	v_mul_f16_e32 v163, 0xbb7b, v95
	v_add_f16_e32 v158, v160, v158
	v_fma_f16 v160, v36, s8, -v162
	v_add_f16_e32 v144, v146, v144
	v_fma_f16 v146, v36, s12, -v148
	;; [unrolled: 2-line block ×4, first 2 shown]
	v_add_f16_e32 v89, v94, v89
	v_fma_f16 v94, v93, s19, v39
	v_mul_f16_e32 v36, 0xb5ac, v36
	v_add_f16_e32 v4, v6, v4
	s_movk_i32 s17, 0x394e
	v_fma_f16 v164, v37, s10, v163
	v_add_f16_e32 v158, v160, v158
	v_fma_f16 v160, v37, s10, -v163
	v_add_f16_e32 v144, v146, v144
	v_fma_f16 v146, v37, s16, -v149
	;; [unrolled: 2-line block ×4, first 2 shown]
	v_add_f16_e32 v89, v94, v89
	v_fma_f16 v94, v96, s22, v36
	v_mul_f16_e32 v37, 0xb9fd, v37
	v_add_f16_e32 v4, v7, v4
	v_add_f16_e32 v159, v164, v159
	v_mul_f16_e32 v164, 0x3bf1, v92
	v_add_f16_e32 v89, v94, v89
	v_fma_f16 v94, v95, s17, v37
	s_mov_b32 s17, 0xb770
	v_add_f16_e32 v0, v0, v4
	s_mov_b32 s9, 0xba95
	s_movk_i32 s23, 0x33a8
	v_fma_f16 v165, v34, s15, v164
	v_add_f16_e32 v158, v160, v158
	v_fma_f16 v160, v34, s15, -v164
	v_add_f16_e32 v144, v146, v144
	v_fma_f16 v146, v34, s10, -v150
	;; [unrolled: 2-line block ×4, first 2 shown]
	v_mul_f16_e32 v34, 0xbbc4, v34
	v_add_f16_e32 v0, v1, v0
	v_fma_f16 v1, v64, s17, v33
	s_mov_b32 s18, 0xbbf1
	v_add_f16_e32 v159, v165, v159
	v_mul_f16_e32 v165, 0xb3a8, v87
	v_add_f16_e32 v89, v94, v89
	v_fma_f16 v94, v92, s23, v34
	v_mul_f16_e32 v87, 0xb770, v87
	v_add_f16_e32 v0, v2, v0
	v_add_f16_e32 v1, v61, v1
	v_fma_f16 v2, v81, s9, v38
	s_mov_b32 s11, 0xbb7b
	v_add_f16_e32 v89, v94, v89
	v_fma_f16 v94, v40, s16, v87
	v_mul_f16_e32 v97, 0xba95, v102
	v_add_f16_e32 v62, v32, v62
	v_add_f16_e32 v1, v2, v1
	v_fma_f16 v2, v93, s18, v39
	s_mov_b32 s20, 0xb94e
	v_add_f16_e32 v94, v32, v94
	v_fma_f16 v98, v101, s8, v97
	v_add_f16_e32 v62, v67, v62
	v_add_f16_e32 v1, v2, v1
	v_fma_f16 v2, v96, s11, v36
	s_mov_b32 s13, 0xb3a8
	v_add_f16_e32 v94, v98, v94
	v_mul_f16_e32 v98, 0xbbf1, v105
	v_add_f16_e32 v62, v66, v62
	v_add_f16_e32 v1, v2, v1
	v_fma_f16 v2, v95, s20, v37
	v_fma_f16 v99, v104, s15, v98
	v_add_f16_e32 v43, v43, v62
	v_add_f16_e32 v1, v2, v1
	v_fma_f16 v2, v92, s13, v34
	v_fma_f16 v166, v40, s12, -v165
	v_mul_f16_e32 v167, 0x3770, v102
	v_add_f16_e32 v94, v99, v94
	v_mul_f16_e32 v99, 0xbb7b, v108
	v_add_f16_e32 v42, v42, v43
	v_add_f16_e32 v1, v2, v1
	v_fma_f16 v2, v40, s16, -v87
	v_add_f16_e32 v166, v32, v166
	v_fma_f16 v168, v101, s16, -v167
	v_fma_f16 v102, v107, s10, v99
	v_add_f16_e32 v41, v41, v42
	v_add_f16_e32 v0, v3, v0
	;; [unrolled: 1-line block ×3, first 2 shown]
	v_fma_f16 v3, v101, s8, -v97
	v_add_f16_e32 v166, v168, v166
	v_mul_f16_e32 v168, 0xb94e, v105
	v_add_f16_e32 v116, v118, v116
	v_fma_f16 v118, v40, s15, v123
	v_add_f16_e32 v94, v102, v94
	v_mul_f16_e32 v102, 0xb94e, v111
	v_add_f16_e32 v41, v88, v41
	v_add_f16_e32 v2, v3, v2
	v_fma_f16 v3, v104, s15, -v98
	v_fma_f16 v169, v104, s14, -v168
	v_add_f16_e32 v144, v146, v144
	v_fma_f16 v146, v40, s14, v151
	v_add_f16_e32 v130, v132, v130
	v_fma_f16 v132, v40, s10, v137
	;; [unrolled: 2-line block ×3, first 2 shown]
	v_fma_f16 v103, v110, s14, v102
	v_add_f16_e32 v41, v90, v41
	v_add_f16_e32 v2, v3, v2
	v_fma_f16 v3, v107, s10, -v99
	v_add_f16_e32 v166, v169, v166
	v_mul_f16_e32 v169, 0x3a95, v108
	v_add_f16_e32 v158, v160, v158
	v_fma_f16 v160, v40, s12, v165
	v_add_f16_e32 v146, v32, v146
	v_fma_f16 v147, v101, s15, v153
	;; [unrolled: 2-line block ×4, first 2 shown]
	v_add_f16_e32 v94, v103, v94
	v_mul_f16_e32 v103, 0xb3a8, v114
	v_add_f16_e32 v41, v91, v41
	v_add_f16_e32 v0, v8, v0
	;; [unrolled: 1-line block ×3, first 2 shown]
	v_fma_f16 v3, v110, s14, -v102
	v_fma_f16 v170, v107, s8, -v169
	v_add_f16_e32 v160, v32, v160
	v_fma_f16 v161, v101, s16, v167
	v_add_f16_e32 v146, v147, v146
	v_fma_f16 v147, v104, s8, v154
	;; [unrolled: 2-line block ×4, first 2 shown]
	v_add_f16_e32 v41, v86, v41
	v_add_f16_e32 v0, v9, v0
	;; [unrolled: 1-line block ×3, first 2 shown]
	v_fma_f16 v3, v113, s12, -v103
	v_add_f16_e32 v166, v170, v166
	v_mul_f16_e32 v170, 0xbb7b, v111
	v_add_f16_e32 v160, v161, v160
	v_fma_f16 v161, v104, s14, v168
	v_add_f16_e32 v146, v147, v146
	v_fma_f16 v147, v107, s12, v155
	;; [unrolled: 2-line block ×4, first 2 shown]
	v_fma_f16 v105, v113, s12, v103
	v_add_f16_e32 v41, v80, v41
	v_add_f16_e32 v0, v10, v0
	;; [unrolled: 1-line block ×3, first 2 shown]
	v_mul_u32_u24_e32 v3, 52, v58
	v_fma_f16 v171, v110, s10, -v170
	v_add_f16_e32 v160, v161, v160
	v_fma_f16 v161, v107, s8, v169
	v_add_f16_e32 v146, v147, v146
	v_fma_f16 v147, v110, s16, v156
	;; [unrolled: 2-line block ×4, first 2 shown]
	v_add_f16_e32 v94, v105, v94
	v_add_f16_e32 v41, v63, v41
	;; [unrolled: 1-line block ×3, first 2 shown]
	v_or_b32_e32 v3, v3, v57
	v_add_f16_e32 v166, v171, v166
	v_mul_f16_e32 v171, 0x3bf1, v114
	v_add_f16_e32 v160, v161, v160
	v_fma_f16 v161, v110, s10, v170
	v_add_f16_e32 v146, v147, v146
	v_fma_f16 v147, v113, s10, v157
	;; [unrolled: 2-line block ×3, first 2 shown]
	v_add_f16_e32 v118, v119, v118
	v_lshl_add_u32 v3, v3, 2, v56
	v_pack_b32_f16 v0, v41, v0
	v_pack_b32_f16 v4, v94, v89
	v_fma_f16 v172, v113, s15, -v171
	v_add_f16_e32 v160, v161, v160
	v_fma_f16 v161, v113, s15, v171
	v_add_f16_e32 v146, v147, v146
	v_add_f16_e32 v132, v133, v132
	ds_write2_b32 v3, v0, v4 offset1:4
	v_pack_b32_f16 v0, v85, v65
	v_pack_b32_f16 v4, v118, v116
	v_add_f16_e32 v166, v172, v166
	v_add_f16_e32 v160, v161, v160
	ds_write2_b32 v3, v0, v4 offset0:8 offset1:12
	v_pack_b32_f16 v0, v132, v130
	v_pack_b32_f16 v4, v146, v144
	ds_write2_b32 v3, v0, v4 offset0:16 offset1:20
	v_pack_b32_f16 v0, v160, v158
	v_pack_b32_f16 v4, v166, v159
	;; [unrolled: 3-line block ×4, first 2 shown]
	ds_write2_b32 v3, v0, v4 offset0:40 offset1:44
	v_pack_b32_f16 v0, v2, v1
	ds_write_b32 v3, v0 offset:192
.LBB0_9:
	s_or_b64 exec, exec, s[0:1]
	v_add_u32_e32 v6, 0x600, v52
	s_waitcnt lgkmcnt(0)
	s_barrier
	ds_read2_b32 v[0:1], v52 offset1:78
	ds_read2_b32 v[8:9], v6 offset0:84 offset1:162
	ds_read2_b32 v[10:11], v52 offset0:156 offset1:234
	v_add_u32_e32 v5, 0x800, v52
	ds_read2_b32 v[32:33], v5 offset0:112 offset1:190
	v_add_u32_e32 v2, 0xc00, v52
	s_waitcnt lgkmcnt(2)
	v_lshrrev_b32_e32 v7, 16, v8
	v_mul_f16_sdwa v62, v70, v7 dst_sel:DWORD dst_unused:UNUSED_PAD src0_sel:WORD_1 src1_sel:DWORD
	v_lshrrev_b32_e32 v39, 16, v9
	v_fma_f16 v62, v70, v8, v62
	v_mul_f16_sdwa v8, v70, v8 dst_sel:DWORD dst_unused:UNUSED_PAD src0_sel:WORD_1 src1_sel:DWORD
	ds_read2_b32 v[36:37], v2 offset0:12 offset1:90
	v_fma_f16 v7, v70, v7, -v8
	v_mul_f16_sdwa v8, v73, v39 dst_sel:DWORD dst_unused:UNUSED_PAD src0_sel:WORD_1 src1_sel:DWORD
	s_waitcnt lgkmcnt(1)
	v_lshrrev_b32_e32 v41, 16, v32
	v_fma_f16 v8, v73, v9, v8
	v_mul_f16_sdwa v9, v73, v9 dst_sel:DWORD dst_unused:UNUSED_PAD src0_sel:WORD_1 src1_sel:DWORD
	v_fma_f16 v9, v73, v39, -v9
	v_mul_f16_sdwa v39, v72, v41 dst_sel:DWORD dst_unused:UNUSED_PAD src0_sel:WORD_1 src1_sel:DWORD
	v_lshrrev_b32_e32 v43, 16, v33
	v_fma_f16 v39, v72, v32, v39
	v_mul_f16_sdwa v32, v72, v32 dst_sel:DWORD dst_unused:UNUSED_PAD src0_sel:WORD_1 src1_sel:DWORD
	v_fma_f16 v32, v72, v41, -v32
	v_mul_f16_sdwa v41, v71, v43 dst_sel:DWORD dst_unused:UNUSED_PAD src0_sel:WORD_1 src1_sel:DWORD
	s_waitcnt lgkmcnt(0)
	v_lshrrev_b32_e32 v57, 16, v36
	v_fma_f16 v41, v71, v33, v41
	v_mul_f16_sdwa v33, v71, v33 dst_sel:DWORD dst_unused:UNUSED_PAD src0_sel:WORD_1 src1_sel:DWORD
	v_fma_f16 v33, v71, v43, -v33
	v_mul_f16_sdwa v43, v69, v57 dst_sel:DWORD dst_unused:UNUSED_PAD src0_sel:WORD_1 src1_sel:DWORD
	v_add_u32_e32 v3, 0x400, v52
	v_lshrrev_b32_e32 v61, 16, v37
	v_fma_f16 v43, v69, v36, v43
	v_mul_f16_sdwa v36, v69, v36 dst_sel:DWORD dst_unused:UNUSED_PAD src0_sel:WORD_1 src1_sel:DWORD
	ds_read2_b32 v[34:35], v3 offset0:56 offset1:134
	v_fma_f16 v36, v69, v57, -v36
	v_mul_f16_sdwa v57, v68, v61 dst_sel:DWORD dst_unused:UNUSED_PAD src0_sel:WORD_1 src1_sel:DWORD
	v_lshrrev_b32_e32 v4, 16, v0
	v_fma_f16 v57, v68, v37, v57
	v_mul_f16_sdwa v37, v68, v37 dst_sel:DWORD dst_unused:UNUSED_PAD src0_sel:WORD_1 src1_sel:DWORD
	v_lshrrev_b32_e32 v38, 16, v1
	v_fma_f16 v37, v68, v61, -v37
	v_sub_f16_e32 v61, v0, v62
	v_sub_f16_e32 v7, v4, v7
	v_lshrrev_b32_e32 v40, 16, v10
	v_fma_f16 v0, v0, 2.0, -v61
	v_fma_f16 v4, v4, 2.0, -v7
	v_sub_f16_e32 v8, v1, v8
	v_sub_f16_e32 v9, v38, v9
	v_lshrrev_b32_e32 v42, 16, v11
	v_fma_f16 v1, v1, 2.0, -v8
	v_fma_f16 v38, v38, 2.0, -v9
	v_sub_f16_e32 v39, v10, v39
	v_sub_f16_e32 v32, v40, v32
	v_pack_b32_f16 v0, v0, v4
	v_pack_b32_f16 v4, v61, v7
	s_waitcnt lgkmcnt(0)
	v_lshrrev_b32_e32 v56, 16, v34
	v_fma_f16 v10, v10, 2.0, -v39
	v_fma_f16 v40, v40, 2.0, -v32
	v_sub_f16_e32 v41, v11, v41
	v_sub_f16_e32 v33, v42, v33
	s_barrier
	ds_write2_b32 v74, v0, v4 offset1:52
	v_pack_b32_f16 v0, v1, v38
	v_pack_b32_f16 v1, v8, v9
	v_lshrrev_b32_e32 v58, 16, v35
	v_fma_f16 v11, v11, 2.0, -v41
	v_fma_f16 v42, v42, 2.0, -v33
	v_sub_f16_e32 v43, v34, v43
	v_sub_f16_e32 v36, v56, v36
	ds_write2_b32 v75, v0, v1 offset1:52
	v_pack_b32_f16 v0, v10, v40
	v_pack_b32_f16 v1, v39, v32
	v_fma_f16 v34, v34, 2.0, -v43
	v_fma_f16 v56, v56, 2.0, -v36
	v_sub_f16_e32 v57, v35, v57
	v_sub_f16_e32 v37, v58, v37
	ds_write2_b32 v76, v0, v1 offset1:52
	v_pack_b32_f16 v0, v11, v42
	v_pack_b32_f16 v1, v41, v33
	v_fma_f16 v35, v35, 2.0, -v57
	v_fma_f16 v58, v58, 2.0, -v37
	ds_write2_b32 v77, v0, v1 offset1:52
	v_pack_b32_f16 v0, v34, v56
	v_pack_b32_f16 v1, v43, v36
	ds_write2_b32 v78, v0, v1 offset1:52
	v_pack_b32_f16 v0, v35, v58
	v_pack_b32_f16 v1, v57, v37
	ds_write2_b32 v79, v0, v1 offset1:52
	s_waitcnt lgkmcnt(0)
	s_barrier
	ds_read2_b32 v[0:1], v52 offset1:78
	ds_read2_b32 v[8:9], v3 offset0:56 offset1:134
	ds_read2_b32 v[10:11], v5 offset0:112 offset1:190
	;; [unrolled: 1-line block ×5, first 2 shown]
	s_mov_b32 s0, 0xbaee
	s_waitcnt lgkmcnt(5)
	v_lshrrev_b32_e32 v4, 16, v0
	s_waitcnt lgkmcnt(4)
	v_lshrrev_b32_e32 v7, 16, v8
	v_mul_f16_sdwa v62, v20, v7 dst_sel:DWORD dst_unused:UNUSED_PAD src0_sel:WORD_1 src1_sel:DWORD
	s_waitcnt lgkmcnt(3)
	v_lshrrev_b32_e32 v38, 16, v10
	v_fma_f16 v62, v20, v8, v62
	v_mul_f16_sdwa v8, v20, v8 dst_sel:DWORD dst_unused:UNUSED_PAD src0_sel:WORD_1 src1_sel:DWORD
	v_fma_f16 v7, v20, v7, -v8
	v_mul_f16_sdwa v8, v21, v38 dst_sel:DWORD dst_unused:UNUSED_PAD src0_sel:WORD_1 src1_sel:DWORD
	v_lshrrev_b32_e32 v40, 16, v9
	v_lshrrev_b32_e32 v41, 16, v11
	v_fma_f16 v8, v21, v10, v8
	v_mul_f16_sdwa v10, v21, v10 dst_sel:DWORD dst_unused:UNUSED_PAD src0_sel:WORD_1 src1_sel:DWORD
	v_fma_f16 v10, v21, v38, -v10
	v_mul_f16_sdwa v20, v22, v40 dst_sel:DWORD dst_unused:UNUSED_PAD src0_sel:WORD_1 src1_sel:DWORD
	v_mul_f16_sdwa v21, v23, v41 dst_sel:DWORD dst_unused:UNUSED_PAD src0_sel:WORD_1 src1_sel:DWORD
	s_waitcnt lgkmcnt(1)
	v_lshrrev_b32_e32 v43, 16, v34
	v_fma_f16 v20, v22, v9, v20
	v_mul_f16_sdwa v9, v22, v9 dst_sel:DWORD dst_unused:UNUSED_PAD src0_sel:WORD_1 src1_sel:DWORD
	v_fma_f16 v21, v23, v11, v21
	v_mul_f16_sdwa v11, v23, v11 dst_sel:DWORD dst_unused:UNUSED_PAD src0_sel:WORD_1 src1_sel:DWORD
	s_waitcnt lgkmcnt(0)
	v_lshrrev_b32_e32 v56, 16, v36
	v_fma_f16 v9, v22, v40, -v9
	v_fma_f16 v11, v23, v41, -v11
	v_mul_f16_sdwa v22, v24, v43 dst_sel:DWORD dst_unused:UNUSED_PAD src0_sel:WORD_1 src1_sel:DWORD
	v_mul_f16_sdwa v23, v24, v34 dst_sel:DWORD dst_unused:UNUSED_PAD src0_sel:WORD_1 src1_sel:DWORD
	v_lshrrev_b32_e32 v58, 16, v35
	v_fma_f16 v22, v24, v34, v22
	v_fma_f16 v23, v24, v43, -v23
	v_mul_f16_sdwa v24, v25, v56 dst_sel:DWORD dst_unused:UNUSED_PAD src0_sel:WORD_1 src1_sel:DWORD
	v_mul_f16_sdwa v34, v25, v36 dst_sel:DWORD dst_unused:UNUSED_PAD src0_sel:WORD_1 src1_sel:DWORD
	v_fma_f16 v24, v25, v36, v24
	v_fma_f16 v25, v25, v56, -v34
	v_mul_f16_sdwa v34, v26, v58 dst_sel:DWORD dst_unused:UNUSED_PAD src0_sel:WORD_1 src1_sel:DWORD
	v_lshrrev_b32_e32 v61, 16, v37
	v_fma_f16 v34, v26, v35, v34
	v_mul_f16_sdwa v35, v26, v35 dst_sel:DWORD dst_unused:UNUSED_PAD src0_sel:WORD_1 src1_sel:DWORD
	v_fma_f16 v26, v26, v58, -v35
	v_mul_f16_sdwa v35, v27, v61 dst_sel:DWORD dst_unused:UNUSED_PAD src0_sel:WORD_1 src1_sel:DWORD
	v_fma_f16 v35, v27, v37, v35
	v_mul_f16_sdwa v36, v27, v37 dst_sel:DWORD dst_unused:UNUSED_PAD src0_sel:WORD_1 src1_sel:DWORD
	v_add_f16_e32 v37, v62, v8
	v_fma_f16 v27, v27, v61, -v36
	v_add_f16_e32 v36, v0, v62
	v_fma_f16 v0, v37, -0.5, v0
	v_sub_f16_e32 v37, v7, v10
	s_movk_i32 s1, 0x3aee
	v_fma_f16 v38, v37, s0, v0
	v_fma_f16 v0, v37, s1, v0
	v_add_f16_e32 v37, v4, v7
	v_add_f16_e32 v7, v7, v10
	;; [unrolled: 1-line block ×3, first 2 shown]
	v_fma_f16 v4, v7, -0.5, v4
	v_sub_f16_e32 v7, v62, v8
	v_add_f16_e32 v10, v20, v21
	v_lshrrev_b32_e32 v39, 16, v1
	v_add_f16_e32 v36, v36, v8
	v_fma_f16 v8, v7, s1, v4
	v_fma_f16 v4, v7, s0, v4
	v_add_f16_e32 v7, v1, v20
	v_fma_f16 v1, v10, -0.5, v1
	v_sub_f16_e32 v10, v9, v11
	v_fma_f16 v40, v10, s0, v1
	v_fma_f16 v1, v10, s1, v1
	v_add_f16_e32 v10, v39, v9
	v_add_f16_e32 v9, v9, v11
	;; [unrolled: 1-line block ×4, first 2 shown]
	v_fma_f16 v9, v9, -0.5, v39
	v_sub_f16_e32 v11, v20, v21
	v_add_f16_e32 v21, v22, v24
	v_lshrrev_b32_e32 v42, 16, v32
	v_fma_f16 v20, v11, s1, v9
	v_fma_f16 v9, v11, s0, v9
	v_add_f16_e32 v11, v32, v22
	v_fma_f16 v21, v21, -0.5, v32
	v_sub_f16_e32 v32, v23, v25
	v_fma_f16 v39, v32, s0, v21
	v_fma_f16 v21, v32, s1, v21
	v_add_f16_e32 v32, v42, v23
	v_add_f16_e32 v23, v23, v25
	v_add_f16_e32 v32, v32, v25
	v_fma_f16 v23, v23, -0.5, v42
	v_sub_f16_e32 v22, v22, v24
	v_add_f16_e32 v25, v34, v35
	v_lshrrev_b32_e32 v57, 16, v33
	v_add_f16_e32 v11, v11, v24
	v_fma_f16 v24, v22, s1, v23
	v_fma_f16 v22, v22, s0, v23
	v_add_f16_e32 v23, v33, v34
	v_fma_f16 v25, v25, -0.5, v33
	v_sub_f16_e32 v33, v26, v27
	v_fma_f16 v41, v33, s0, v25
	v_fma_f16 v25, v33, s1, v25
	v_add_f16_e32 v33, v57, v26
	v_add_f16_e32 v26, v26, v27
	;; [unrolled: 1-line block ×3, first 2 shown]
	v_fma_f16 v26, v26, -0.5, v57
	v_sub_f16_e32 v27, v34, v35
	v_pack_b32_f16 v0, v0, v4
	v_fma_f16 v34, v27, s1, v26
	v_fma_f16 v26, v27, s0, v26
	s_barrier
	v_pack_b32_f16 v27, v36, v37
	v_pack_b32_f16 v8, v38, v8
	ds_write_b32 v52, v0 offset:832
	v_pack_b32_f16 v0, v7, v10
	v_pack_b32_f16 v4, v40, v20
	ds_write2_b32 v52, v27, v8 offset1:104
	ds_write2_b32 v13, v0, v4 offset1:104
	v_pack_b32_f16 v0, v1, v9
	ds_write_b32 v13, v0 offset:832
	v_pack_b32_f16 v0, v11, v32
	v_pack_b32_f16 v1, v39, v24
	v_add_f16_e32 v23, v23, v35
	ds_write2_b32 v82, v0, v1 offset1:104
	v_pack_b32_f16 v0, v21, v22
	ds_write_b32 v82, v0 offset:832
	v_pack_b32_f16 v0, v23, v33
	v_pack_b32_f16 v1, v41, v34
	v_add_u32_e32 v4, 0x800, v83
	ds_write2_b32 v4, v0, v1 offset0:112 offset1:216
	v_pack_b32_f16 v0, v25, v26
	ds_write_b32 v83, v0 offset:3328
	s_waitcnt lgkmcnt(0)
	s_barrier
	ds_read2_b32 v[8:9], v52 offset1:78
	ds_read2_b32 v[10:11], v3 offset0:56 offset1:134
	ds_read2_b32 v[20:21], v5 offset0:112 offset1:190
	ds_read2_b32 v[22:23], v52 offset0:156 offset1:234
	ds_read2_b32 v[24:25], v6 offset0:84 offset1:162
	ds_read2_b32 v[26:27], v2 offset0:12 offset1:90
	v_mov_b32_e32 v0, s2
	s_waitcnt lgkmcnt(5)
	v_lshrrev_b32_e32 v1, 16, v8
	s_waitcnt lgkmcnt(4)
	v_lshrrev_b32_e32 v4, 16, v10
	v_mul_f16_sdwa v40, v28, v4 dst_sel:DWORD dst_unused:UNUSED_PAD src0_sel:WORD_1 src1_sel:DWORD
	s_waitcnt lgkmcnt(3)
	v_lshrrev_b32_e32 v7, 16, v20
	v_fma_f16 v40, v28, v10, v40
	v_mul_f16_sdwa v10, v28, v10 dst_sel:DWORD dst_unused:UNUSED_PAD src0_sel:WORD_1 src1_sel:DWORD
	v_fma_f16 v4, v28, v4, -v10
	v_mul_f16_sdwa v10, v29, v7 dst_sel:DWORD dst_unused:UNUSED_PAD src0_sel:WORD_1 src1_sel:DWORD
	s_waitcnt lgkmcnt(1)
	v_lshrrev_b32_e32 v35, 16, v24
	v_fma_f16 v10, v29, v20, v10
	v_mul_f16_sdwa v20, v29, v20 dst_sel:DWORD dst_unused:UNUSED_PAD src0_sel:WORD_1 src1_sel:DWORD
	v_fma_f16 v7, v29, v7, -v20
	;; [unrolled: 6-line block ×3, first 2 shown]
	v_mul_f16_sdwa v24, v17, v36 dst_sel:DWORD dst_unused:UNUSED_PAD src0_sel:WORD_1 src1_sel:DWORD
	v_lshrrev_b32_e32 v38, 16, v25
	v_fma_f16 v24, v17, v26, v24
	v_mul_f16_sdwa v26, v17, v26 dst_sel:DWORD dst_unused:UNUSED_PAD src0_sel:WORD_1 src1_sel:DWORD
	v_lshrrev_b32_e32 v32, 16, v11
	v_fma_f16 v17, v17, v36, -v26
	v_mul_f16_sdwa v26, v18, v38 dst_sel:DWORD dst_unused:UNUSED_PAD src0_sel:WORD_1 src1_sel:DWORD
	v_lshrrev_b32_e32 v39, 16, v27
	v_mul_f16_sdwa v20, v30, v32 dst_sel:DWORD dst_unused:UNUSED_PAD src0_sel:WORD_1 src1_sel:DWORD
	v_fma_f16 v26, v18, v25, v26
	v_mul_f16_sdwa v25, v18, v25 dst_sel:DWORD dst_unused:UNUSED_PAD src0_sel:WORD_1 src1_sel:DWORD
	v_lshrrev_b32_e32 v33, 16, v21
	v_fma_f16 v20, v30, v11, v20
	v_mul_f16_sdwa v11, v30, v11 dst_sel:DWORD dst_unused:UNUSED_PAD src0_sel:WORD_1 src1_sel:DWORD
	v_fma_f16 v18, v18, v38, -v25
	v_mul_f16_sdwa v25, v19, v39 dst_sel:DWORD dst_unused:UNUSED_PAD src0_sel:WORD_1 src1_sel:DWORD
	v_fma_f16 v11, v30, v32, -v11
	v_mul_f16_sdwa v28, v31, v33 dst_sel:DWORD dst_unused:UNUSED_PAD src0_sel:WORD_1 src1_sel:DWORD
	v_fma_f16 v25, v19, v27, v25
	v_mul_f16_sdwa v27, v19, v27 dst_sel:DWORD dst_unused:UNUSED_PAD src0_sel:WORD_1 src1_sel:DWORD
	v_add_f16_e32 v30, v40, v10
	v_fma_f16 v28, v31, v21, v28
	v_mul_f16_sdwa v21, v31, v21 dst_sel:DWORD dst_unused:UNUSED_PAD src0_sel:WORD_1 src1_sel:DWORD
	v_fma_f16 v19, v19, v39, -v27
	v_add_f16_e32 v27, v8, v40
	v_fma_f16 v8, v30, -0.5, v8
	v_sub_f16_e32 v30, v4, v7
	v_fma_f16 v21, v31, v33, -v21
	v_fma_f16 v31, v30, s0, v8
	v_fma_f16 v8, v30, s1, v8
	v_add_f16_e32 v30, v1, v4
	v_add_f16_e32 v4, v4, v7
	;; [unrolled: 1-line block ×3, first 2 shown]
	v_fma_f16 v1, v4, -0.5, v1
	v_sub_f16_e32 v4, v40, v10
	v_add_f16_e32 v10, v20, v28
	v_lshrrev_b32_e32 v13, 16, v9
	v_add_f16_e32 v30, v30, v7
	v_fma_f16 v7, v4, s1, v1
	v_fma_f16 v1, v4, s0, v1
	v_add_f16_e32 v4, v9, v20
	v_fma_f16 v9, v10, -0.5, v9
	v_sub_f16_e32 v10, v11, v21
	v_fma_f16 v32, v10, s0, v9
	v_fma_f16 v9, v10, s1, v9
	v_add_f16_e32 v10, v13, v11
	v_add_f16_e32 v11, v11, v21
	;; [unrolled: 1-line block ×3, first 2 shown]
	v_fma_f16 v11, v11, -0.5, v13
	v_sub_f16_e32 v13, v20, v28
	v_add_f16_e32 v21, v29, v24
	v_lshrrev_b32_e32 v34, 16, v22
	v_fma_f16 v20, v13, s1, v11
	v_fma_f16 v11, v13, s0, v11
	v_add_f16_e32 v13, v22, v29
	v_fma_f16 v21, v21, -0.5, v22
	v_sub_f16_e32 v22, v16, v17
	v_add_f16_e32 v4, v4, v28
	v_fma_f16 v28, v22, s0, v21
	v_fma_f16 v21, v22, s1, v21
	v_add_f16_e32 v22, v34, v16
	v_add_f16_e32 v16, v16, v17
	;; [unrolled: 1-line block ×3, first 2 shown]
	v_fma_f16 v16, v16, -0.5, v34
	v_sub_f16_e32 v17, v29, v24
	v_add_f16_e32 v29, v26, v25
	v_lshrrev_b32_e32 v37, 16, v23
	v_add_f16_e32 v13, v13, v24
	v_fma_f16 v24, v17, s1, v16
	v_fma_f16 v16, v17, s0, v16
	v_add_f16_e32 v17, v23, v26
	v_fma_f16 v23, v29, -0.5, v23
	v_sub_f16_e32 v29, v18, v19
	v_fma_f16 v33, v29, s0, v23
	v_fma_f16 v23, v29, s1, v23
	v_add_f16_e32 v29, v37, v18
	v_add_f16_e32 v18, v18, v19
	;; [unrolled: 1-line block ×3, first 2 shown]
	v_fma_f16 v18, v18, -0.5, v37
	v_sub_f16_e32 v19, v26, v25
	v_add_f16_e32 v17, v17, v25
	v_fma_f16 v25, v19, s1, v18
	v_fma_f16 v18, v19, s0, v18
	v_pack_b32_f16 v19, v27, v30
	v_pack_b32_f16 v7, v31, v7
	;; [unrolled: 1-line block ×3, first 2 shown]
	ds_write_b32 v52, v19
	ds_write_b32 v52, v7 offset:1248
	ds_write_b32 v84, v1 offset:2496
	v_pack_b32_f16 v1, v4, v10
	ds_write_b32 v52, v1 offset:312
	v_pack_b32_f16 v1, v32, v20
	;; [unrolled: 2-line block ×3, first 2 shown]
	v_pack_b32_f16 v4, v28, v24
	ds_write_b32 v84, v1 offset:2808
	ds_write_b32 v60, v4 offset:1248
	v_pack_b32_f16 v4, v21, v16
	v_pack_b32_f16 v1, v13, v22
	ds_write_b32 v60, v4 offset:2496
	v_pack_b32_f16 v4, v17, v29
	ds_write2_b32 v52, v1, v4 offset0:156 offset1:234
	v_pack_b32_f16 v1, v33, v25
	ds_write_b32 v59, v1 offset:1248
	v_pack_b32_f16 v1, v23, v18
	ds_write_b32 v59, v1 offset:2496
	s_waitcnt lgkmcnt(0)
	s_barrier
	ds_read2_b32 v[8:9], v52 offset1:78
	v_mad_u64_u32 v[10:11], s[0:1], s6, v14, 0
	v_mov_b32_e32 v4, v11
	v_mov_b32_e32 v1, s3
	s_waitcnt lgkmcnt(0)
	v_lshrrev_b32_e32 v7, 16, v8
	v_mul_f16_sdwa v11, v55, v7 dst_sel:DWORD dst_unused:UNUSED_PAD src0_sel:WORD_1 src1_sel:DWORD
	v_fma_f16 v11, v55, v8, v11
	v_cvt_f32_f16_e32 v13, v11
	v_mad_u64_u32 v[16:17], s[0:1], s7, v14, v[4:5]
	s_mov_b32 s2, 0x11811812
	v_mov_b32_e32 v11, v16
	v_cvt_f64_f32_e32 v[16:17], v13
	s_mov_b32 s3, 0x3f518118
	v_mul_f64 v[16:17], v[16:17], s[2:3]
	s_movk_i32 s6, 0x1ff
	v_and_or_b32 v4, v17, s6, v16
	v_cmp_ne_u32_e32 vcc, 0, v4
	v_lshrrev_b32_e32 v13, 8, v17
	s_movk_i32 s7, 0xffe
	v_cndmask_b32_e64 v4, 0, 1, vcc
	v_bfe_u32 v14, v17, 20, 11
	v_and_or_b32 v13, v13, s7, v4
	v_sub_u32_e32 v16, 0x3f1, v14
	v_or_b32_e32 v4, 0x1000, v13
	v_med3_i32 v16, v16, 0, 13
	v_lshrrev_b32_e32 v18, v16, v4
	v_lshlrev_b32_e32 v16, v16, v18
	v_cmp_ne_u32_e32 vcc, v16, v4
	v_add_u32_e32 v14, 0xfffffc10, v14
	v_lshl_or_b32 v16, v14, 12, v13
	v_cndmask_b32_e64 v4, 0, 1, vcc
	v_or_b32_e32 v4, v18, v4
	v_cmp_gt_i32_e32 vcc, 1, v14
	v_mul_f16_sdwa v8, v55, v8 dst_sel:DWORD dst_unused:UNUSED_PAD src0_sel:WORD_1 src1_sel:DWORD
	v_fma_f16 v7, v55, v7, -v8
	v_cndmask_b32_e32 v4, v16, v4, vcc
	v_and_b32_e32 v16, 7, v4
	v_cmp_lt_i32_e32 vcc, 5, v16
	v_cmp_eq_u32_e64 s[0:1], 3, v16
	v_lshrrev_b32_e32 v4, 2, v4
	s_or_b64 vcc, s[0:1], vcc
	v_addc_co_u32_e32 v16, vcc, 0, v4, vcc
	v_mov_b32_e32 v4, 0x7c00
	v_cmp_gt_i32_e32 vcc, 31, v14
	v_cvt_f32_f16_e32 v7, v7
	s_movk_i32 s8, 0x40f
	v_cndmask_b32_e32 v16, v4, v16, vcc
	v_cmp_ne_u32_e32 vcc, 0, v13
	s_mov_b32 s9, 0x8000
	v_and_b32_sdwa v18, v17, s9 dst_sel:DWORD dst_unused:UNUSED_PAD src0_sel:WORD_1 src1_sel:DWORD
	v_cndmask_b32_e64 v13, 0, 1, vcc
	v_lshl_or_b32 v13, v13, 9, v4
	v_cmp_eq_u32_e32 vcc, s8, v14
	v_lshl_add_u64 v[0:1], v[10:11], 2, v[0:1]
	s_mov_b32 s10, 0xffff
	v_cndmask_b32_e32 v14, v16, v13, vcc
	v_cvt_f64_f32_e32 v[16:17], v7
	v_mul_f64 v[16:17], v[16:17], s[2:3]
	v_and_or_b32 v7, v17, s6, v16
	v_cmp_ne_u32_e32 vcc, 0, v7
	v_lshrrev_b32_e32 v8, 8, v17
	v_bfe_u32 v13, v17, 20, 11
	v_cndmask_b32_e64 v7, 0, 1, vcc
	v_and_or_b32 v7, v8, s7, v7
	v_sub_u32_e32 v16, 0x3f1, v13
	v_or_b32_e32 v8, 0x1000, v7
	v_med3_i32 v16, v16, 0, 13
	v_lshrrev_b32_e32 v19, v16, v8
	v_lshlrev_b32_e32 v16, v16, v19
	v_cmp_ne_u32_e32 vcc, v16, v8
	v_add_u32_e32 v13, 0xfffffc10, v13
	v_lshl_or_b32 v16, v13, 12, v7
	v_cndmask_b32_e64 v8, 0, 1, vcc
	v_or_b32_e32 v8, v19, v8
	v_cmp_gt_i32_e32 vcc, 1, v13
	s_mul_i32 s11, s5, 0x750
	s_nop 0
	v_cndmask_b32_e32 v8, v16, v8, vcc
	v_and_b32_e32 v16, 7, v8
	v_cmp_lt_i32_e32 vcc, 5, v16
	v_cmp_eq_u32_e64 s[0:1], 3, v16
	v_lshrrev_b32_e32 v8, 2, v8
	s_or_b64 vcc, s[0:1], vcc
	v_addc_co_u32_e32 v8, vcc, 0, v8, vcc
	v_cmp_gt_i32_e32 vcc, 31, v13
	s_nop 1
	v_cndmask_b32_e32 v8, v4, v8, vcc
	v_cmp_ne_u32_e32 vcc, 0, v7
	s_nop 1
	v_cndmask_b32_e64 v7, 0, 1, vcc
	v_lshl_or_b32 v7, v7, 9, v4
	v_cmp_eq_u32_e32 vcc, s8, v13
	s_nop 1
	v_cndmask_b32_e32 v7, v8, v7, vcc
	v_lshrrev_b32_e32 v8, 16, v17
	v_and_or_b32 v19, v8, s9, v7
	ds_read2_b32 v[6:7], v6 offset0:84 offset1:162
	v_mad_u64_u32 v[16:17], s[0:1], s4, v12, 0
	v_mov_b32_e32 v8, v17
	v_mad_u64_u32 v[12:13], s[0:1], s5, v12, v[8:9]
	v_mov_b32_e32 v17, v12
	s_waitcnt lgkmcnt(0)
	v_lshrrev_b32_e32 v12, 16, v6
	v_mul_f16_sdwa v13, v54, v12 dst_sel:DWORD dst_unused:UNUSED_PAD src0_sel:WORD_1 src1_sel:DWORD
	v_fma_f16 v13, v54, v6, v13
	v_cvt_f32_f16_e32 v13, v13
	v_lshl_add_u64 v[10:11], v[16:17], 2, v[0:1]
	v_bitop3_b32 v8, v18, s10, v14 bitop3:0xc8
	v_lshl_or_b32 v8, v19, 16, v8
	v_cvt_f64_f32_e32 v[0:1], v13
	v_mul_f64 v[0:1], v[0:1], s[2:3]
	v_and_or_b32 v0, v1, s6, v0
	v_cmp_ne_u32_e32 vcc, 0, v0
	global_store_dword v[10:11], v8, off
	v_lshrrev_b32_e32 v8, 8, v1
	v_cndmask_b32_e64 v0, 0, 1, vcc
	v_bfe_u32 v13, v1, 20, 11
	v_and_or_b32 v0, v8, s7, v0
	v_sub_u32_e32 v14, 0x3f1, v13
	v_or_b32_e32 v8, 0x1000, v0
	v_med3_i32 v14, v14, 0, 13
	v_lshrrev_b32_e32 v16, v14, v8
	v_lshlrev_b32_e32 v14, v14, v16
	v_cmp_ne_u32_e32 vcc, v14, v8
	v_add_u32_e32 v13, 0xfffffc10, v13
	v_lshl_or_b32 v14, v13, 12, v0
	v_cndmask_b32_e64 v8, 0, 1, vcc
	v_or_b32_e32 v8, v16, v8
	v_cmp_gt_i32_e32 vcc, 1, v13
	v_mul_f16_sdwa v6, v54, v6 dst_sel:DWORD dst_unused:UNUSED_PAD src0_sel:WORD_1 src1_sel:DWORD
	v_fma_f16 v6, v54, v12, -v6
	v_cndmask_b32_e32 v8, v14, v8, vcc
	v_and_b32_e32 v14, 7, v8
	v_cmp_lt_i32_e32 vcc, 5, v14
	v_cmp_eq_u32_e64 s[0:1], 3, v14
	v_lshrrev_b32_e32 v8, 2, v8
	s_or_b64 vcc, s[0:1], vcc
	v_addc_co_u32_e32 v8, vcc, 0, v8, vcc
	v_cmp_gt_i32_e32 vcc, 31, v13
	v_cvt_f32_f16_e32 v6, v6
	v_and_b32_sdwa v12, v1, s9 dst_sel:DWORD dst_unused:UNUSED_PAD src0_sel:WORD_1 src1_sel:DWORD
	v_cndmask_b32_e32 v8, v4, v8, vcc
	v_cmp_ne_u32_e32 vcc, 0, v0
	s_nop 1
	v_cndmask_b32_e64 v0, 0, 1, vcc
	v_lshl_or_b32 v0, v0, 9, v4
	v_cmp_eq_u32_e32 vcc, s8, v13
	s_nop 1
	v_cndmask_b32_e32 v8, v8, v0, vcc
	v_cvt_f64_f32_e32 v[0:1], v6
	v_mul_f64 v[0:1], v[0:1], s[2:3]
	v_and_or_b32 v0, v1, s6, v0
	v_cmp_ne_u32_e32 vcc, 0, v0
	v_lshrrev_b32_e32 v6, 8, v1
	v_bfe_u32 v13, v1, 20, 11
	v_cndmask_b32_e64 v0, 0, 1, vcc
	v_and_or_b32 v0, v6, s7, v0
	v_sub_u32_e32 v14, 0x3f1, v13
	v_or_b32_e32 v6, 0x1000, v0
	v_med3_i32 v14, v14, 0, 13
	v_lshrrev_b32_e32 v16, v14, v6
	v_lshlrev_b32_e32 v14, v14, v16
	v_cmp_ne_u32_e32 vcc, v14, v6
	v_add_u32_e32 v13, 0xfffffc10, v13
	v_lshl_or_b32 v14, v13, 12, v0
	v_cndmask_b32_e64 v6, 0, 1, vcc
	v_or_b32_e32 v6, v16, v6
	v_cmp_gt_i32_e32 vcc, 1, v13
	v_lshrrev_b32_e32 v1, 16, v1
	s_nop 0
	v_cndmask_b32_e32 v6, v14, v6, vcc
	v_and_b32_e32 v14, 7, v6
	v_cmp_lt_i32_e32 vcc, 5, v14
	v_cmp_eq_u32_e64 s[0:1], 3, v14
	v_lshrrev_b32_e32 v6, 2, v6
	s_or_b64 vcc, s[0:1], vcc
	v_addc_co_u32_e32 v6, vcc, 0, v6, vcc
	v_cmp_gt_i32_e32 vcc, 31, v13
	s_nop 1
	v_cndmask_b32_e32 v6, v4, v6, vcc
	v_cmp_ne_u32_e32 vcc, 0, v0
	s_nop 1
	v_cndmask_b32_e64 v0, 0, 1, vcc
	v_lshl_or_b32 v0, v0, 9, v4
	v_cmp_eq_u32_e32 vcc, s8, v13
	s_nop 1
	v_cndmask_b32_e32 v0, v6, v0, vcc
	v_lshrrev_b32_e32 v6, 16, v9
	v_and_or_b32 v0, v1, s9, v0
	v_bitop3_b32 v1, v12, s10, v8 bitop3:0xc8
	v_mul_f16_sdwa v8, v53, v6 dst_sel:DWORD dst_unused:UNUSED_PAD src0_sel:WORD_1 src1_sel:DWORD
	v_fma_f16 v8, v53, v9, v8
	v_cvt_f32_f16_e32 v8, v8
	v_lshl_or_b32 v1, v0, 16, v1
	v_mov_b32_e32 v0, 0x750
	v_mad_u64_u32 v[10:11], s[0:1], s4, v0, v[10:11]
	v_cvt_f64_f32_e32 v[12:13], v8
	v_add_u32_e32 v11, s11, v11
	v_mul_f64 v[12:13], v[12:13], s[2:3]
	global_store_dword v[10:11], v1, off
	v_and_or_b32 v1, v13, s6, v12
	v_cmp_ne_u32_e32 vcc, 0, v1
	v_lshrrev_b32_e32 v8, 8, v13
	v_bfe_u32 v12, v13, 20, 11
	v_cndmask_b32_e64 v1, 0, 1, vcc
	v_and_or_b32 v1, v8, s7, v1
	v_sub_u32_e32 v14, 0x3f1, v12
	v_or_b32_e32 v8, 0x1000, v1
	v_med3_i32 v14, v14, 0, 13
	v_lshrrev_b32_e32 v16, v14, v8
	v_lshlrev_b32_e32 v14, v14, v16
	v_cmp_ne_u32_e32 vcc, v14, v8
	v_add_u32_e32 v12, 0xfffffc10, v12
	v_lshl_or_b32 v14, v12, 12, v1
	v_cndmask_b32_e64 v8, 0, 1, vcc
	v_or_b32_e32 v8, v16, v8
	v_cmp_gt_i32_e32 vcc, 1, v12
	v_mul_f16_sdwa v9, v53, v9 dst_sel:DWORD dst_unused:UNUSED_PAD src0_sel:WORD_1 src1_sel:DWORD
	v_fma_f16 v6, v53, v6, -v9
	v_cndmask_b32_e32 v8, v14, v8, vcc
	v_and_b32_e32 v14, 7, v8
	v_cmp_lt_i32_e32 vcc, 5, v14
	v_cmp_eq_u32_e64 s[0:1], 3, v14
	v_lshrrev_b32_e32 v8, 2, v8
	s_or_b64 vcc, s[0:1], vcc
	v_addc_co_u32_e32 v8, vcc, 0, v8, vcc
	v_cmp_gt_i32_e32 vcc, 31, v12
	v_cvt_f32_f16_e32 v6, v6
	s_nop 0
	v_cndmask_b32_e32 v8, v4, v8, vcc
	v_cmp_ne_u32_e32 vcc, 0, v1
	s_nop 1
	v_cndmask_b32_e64 v1, 0, 1, vcc
	v_lshl_or_b32 v1, v1, 9, v4
	v_cmp_eq_u32_e32 vcc, s8, v12
	v_and_b32_sdwa v12, v13, s9 dst_sel:DWORD dst_unused:UNUSED_PAD src0_sel:WORD_1 src1_sel:DWORD
	s_nop 0
	v_cndmask_b32_e32 v1, v8, v1, vcc
	v_cvt_f64_f32_e32 v[8:9], v6
	v_mul_f64 v[8:9], v[8:9], s[2:3]
	v_and_or_b32 v6, v9, s6, v8
	v_cmp_ne_u32_e32 vcc, 0, v6
	v_lshrrev_b32_e32 v8, 8, v9
	v_bfe_u32 v13, v9, 20, 11
	v_cndmask_b32_e64 v6, 0, 1, vcc
	v_and_or_b32 v6, v8, s7, v6
	v_sub_u32_e32 v14, 0x3f1, v13
	v_or_b32_e32 v8, 0x1000, v6
	v_med3_i32 v14, v14, 0, 13
	v_lshrrev_b32_e32 v16, v14, v8
	v_lshlrev_b32_e32 v14, v14, v16
	v_cmp_ne_u32_e32 vcc, v14, v8
	v_add_u32_e32 v13, 0xfffffc10, v13
	v_lshl_or_b32 v14, v13, 12, v6
	v_cndmask_b32_e64 v8, 0, 1, vcc
	v_or_b32_e32 v8, v16, v8
	v_cmp_gt_i32_e32 vcc, 1, v13
	v_bitop3_b32 v1, v12, s10, v1 bitop3:0xc8
	v_lshrrev_b32_e32 v12, 16, v7
	v_cndmask_b32_e32 v8, v14, v8, vcc
	v_and_b32_e32 v14, 7, v8
	v_cmp_lt_i32_e32 vcc, 5, v14
	v_cmp_eq_u32_e64 s[0:1], 3, v14
	v_lshrrev_b32_e32 v8, 2, v8
	s_or_b64 vcc, s[0:1], vcc
	v_addc_co_u32_e32 v8, vcc, 0, v8, vcc
	v_cmp_gt_i32_e32 vcc, 31, v13
	s_nop 1
	v_cndmask_b32_e32 v8, v4, v8, vcc
	v_cmp_ne_u32_e32 vcc, 0, v6
	s_nop 1
	v_cndmask_b32_e64 v6, 0, 1, vcc
	v_lshl_or_b32 v6, v6, 9, v4
	v_cmp_eq_u32_e32 vcc, s8, v13
	s_nop 1
	v_cndmask_b32_e32 v6, v8, v6, vcc
	v_lshrrev_b32_e32 v8, 16, v9
	v_and_or_b32 v6, v8, s9, v6
	v_lshl_or_b32 v6, v6, 16, v1
	v_mov_b32_e32 v1, 0xfffff9e8
	v_mad_u64_u32 v[8:9], s[0:1], s4, v1, v[10:11]
	v_mul_f16_sdwa v10, v51, v12 dst_sel:DWORD dst_unused:UNUSED_PAD src0_sel:WORD_1 src1_sel:DWORD
	v_fma_f16 v10, v51, v7, v10
	v_cvt_f32_f16_e32 v10, v10
	s_mul_i32 s0, s5, 0xfffff9e8
	s_sub_i32 s5, s0, s4
	v_add_u32_e32 v9, s5, v9
	v_cvt_f64_f32_e32 v[10:11], v10
	v_mul_f64 v[10:11], v[10:11], s[2:3]
	global_store_dword v[8:9], v6, off
	v_and_or_b32 v6, v11, s6, v10
	v_cmp_ne_u32_e32 vcc, 0, v6
	v_lshrrev_b32_e32 v10, 8, v11
	v_bfe_u32 v13, v11, 20, 11
	v_cndmask_b32_e64 v6, 0, 1, vcc
	v_and_or_b32 v6, v10, s7, v6
	v_sub_u32_e32 v14, 0x3f1, v13
	v_or_b32_e32 v10, 0x1000, v6
	v_med3_i32 v14, v14, 0, 13
	v_lshrrev_b32_e32 v16, v14, v10
	v_lshlrev_b32_e32 v14, v14, v16
	v_cmp_ne_u32_e32 vcc, v14, v10
	v_add_u32_e32 v13, 0xfffffc10, v13
	v_lshl_or_b32 v14, v13, 12, v6
	v_cndmask_b32_e64 v10, 0, 1, vcc
	v_or_b32_e32 v10, v16, v10
	v_cmp_gt_i32_e32 vcc, 1, v13
	v_mul_f16_sdwa v7, v51, v7 dst_sel:DWORD dst_unused:UNUSED_PAD src0_sel:WORD_1 src1_sel:DWORD
	v_fma_f16 v7, v51, v12, -v7
	v_cndmask_b32_e32 v10, v14, v10, vcc
	v_and_b32_e32 v14, 7, v10
	v_cmp_lt_i32_e32 vcc, 5, v14
	v_cmp_eq_u32_e64 s[0:1], 3, v14
	v_lshrrev_b32_e32 v10, 2, v10
	s_or_b64 vcc, s[0:1], vcc
	v_addc_co_u32_e32 v10, vcc, 0, v10, vcc
	v_cmp_gt_i32_e32 vcc, 31, v13
	v_cvt_f32_f16_e32 v7, v7
	s_nop 0
	v_cndmask_b32_e32 v10, v4, v10, vcc
	v_cmp_ne_u32_e32 vcc, 0, v6
	s_nop 1
	v_cndmask_b32_e64 v6, 0, 1, vcc
	v_lshl_or_b32 v6, v6, 9, v4
	v_cmp_eq_u32_e32 vcc, s8, v13
	v_and_b32_sdwa v13, v11, s9 dst_sel:DWORD dst_unused:UNUSED_PAD src0_sel:WORD_1 src1_sel:DWORD
	s_nop 0
	v_cndmask_b32_e32 v12, v10, v6, vcc
	v_cvt_f64_f32_e32 v[6:7], v7
	v_mul_f64 v[6:7], v[6:7], s[2:3]
	v_and_or_b32 v6, v7, s6, v6
	v_cmp_ne_u32_e32 vcc, 0, v6
	v_lshrrev_b32_e32 v10, 8, v7
	v_bfe_u32 v11, v7, 20, 11
	v_cndmask_b32_e64 v6, 0, 1, vcc
	v_and_or_b32 v6, v10, s7, v6
	v_sub_u32_e32 v14, 0x3f1, v11
	v_or_b32_e32 v10, 0x1000, v6
	v_med3_i32 v14, v14, 0, 13
	v_lshrrev_b32_e32 v16, v14, v10
	v_lshlrev_b32_e32 v14, v14, v16
	v_cmp_ne_u32_e32 vcc, v14, v10
	v_add_u32_e32 v11, 0xfffffc10, v11
	v_lshl_or_b32 v14, v11, 12, v6
	v_cndmask_b32_e64 v10, 0, 1, vcc
	v_or_b32_e32 v10, v16, v10
	v_cmp_gt_i32_e32 vcc, 1, v11
	v_lshrrev_b32_e32 v7, 16, v7
	s_nop 0
	v_cndmask_b32_e32 v10, v14, v10, vcc
	v_and_b32_e32 v14, 7, v10
	v_cmp_lt_i32_e32 vcc, 5, v14
	v_cmp_eq_u32_e64 s[0:1], 3, v14
	v_lshrrev_b32_e32 v10, 2, v10
	s_or_b64 vcc, s[0:1], vcc
	v_addc_co_u32_e32 v10, vcc, 0, v10, vcc
	v_cmp_gt_i32_e32 vcc, 31, v11
	s_nop 1
	v_cndmask_b32_e32 v10, v4, v10, vcc
	v_cmp_ne_u32_e32 vcc, 0, v6
	s_nop 1
	v_cndmask_b32_e64 v6, 0, 1, vcc
	v_lshl_or_b32 v6, v6, 9, v4
	v_cmp_eq_u32_e32 vcc, s8, v11
	s_nop 1
	v_cndmask_b32_e32 v6, v10, v6, vcc
	ds_read2_b32 v[10:11], v52 offset0:156 offset1:234
	v_and_or_b32 v6, v7, s9, v6
	v_bitop3_b32 v7, v13, s10, v12 bitop3:0xc8
	v_lshl_or_b32 v12, v6, 16, v7
	s_waitcnt lgkmcnt(0)
	v_lshrrev_b32_e32 v13, 16, v10
	v_mul_f16_sdwa v6, v50, v13 dst_sel:DWORD dst_unused:UNUSED_PAD src0_sel:WORD_1 src1_sel:DWORD
	v_fma_f16 v6, v50, v10, v6
	v_cvt_f32_f16_e32 v14, v6
	v_mad_u64_u32 v[6:7], s[0:1], s4, v0, v[8:9]
	v_add_u32_e32 v7, s11, v7
	v_cvt_f64_f32_e32 v[8:9], v14
	v_mul_f64 v[8:9], v[8:9], s[2:3]
	v_and_or_b32 v8, v9, s6, v8
	v_cmp_ne_u32_e32 vcc, 0, v8
	global_store_dword v[6:7], v12, off
	v_lshrrev_b32_e32 v12, 8, v9
	v_cndmask_b32_e64 v8, 0, 1, vcc
	v_bfe_u32 v14, v9, 20, 11
	v_and_or_b32 v8, v12, s7, v8
	v_sub_u32_e32 v16, 0x3f1, v14
	v_or_b32_e32 v12, 0x1000, v8
	v_med3_i32 v16, v16, 0, 13
	v_lshrrev_b32_e32 v17, v16, v12
	v_lshlrev_b32_e32 v16, v16, v17
	v_cmp_ne_u32_e32 vcc, v16, v12
	v_add_u32_e32 v14, 0xfffffc10, v14
	v_lshl_or_b32 v16, v14, 12, v8
	v_cndmask_b32_e64 v12, 0, 1, vcc
	v_or_b32_e32 v12, v17, v12
	v_cmp_gt_i32_e32 vcc, 1, v14
	v_mul_f16_sdwa v10, v50, v10 dst_sel:DWORD dst_unused:UNUSED_PAD src0_sel:WORD_1 src1_sel:DWORD
	v_fma_f16 v10, v50, v13, -v10
	v_cndmask_b32_e32 v12, v16, v12, vcc
	v_and_b32_e32 v16, 7, v12
	v_cmp_lt_i32_e32 vcc, 5, v16
	v_cmp_eq_u32_e64 s[0:1], 3, v16
	v_lshrrev_b32_e32 v12, 2, v12
	s_or_b64 vcc, s[0:1], vcc
	v_addc_co_u32_e32 v12, vcc, 0, v12, vcc
	v_cmp_gt_i32_e32 vcc, 31, v14
	v_cvt_f32_f16_e32 v10, v10
	v_and_b32_sdwa v16, v9, s9 dst_sel:DWORD dst_unused:UNUSED_PAD src0_sel:WORD_1 src1_sel:DWORD
	v_cndmask_b32_e32 v12, v4, v12, vcc
	v_cmp_ne_u32_e32 vcc, 0, v8
	s_nop 1
	v_cndmask_b32_e64 v8, 0, 1, vcc
	v_lshl_or_b32 v8, v8, 9, v4
	v_cmp_eq_u32_e32 vcc, s8, v14
	s_nop 1
	v_cndmask_b32_e32 v14, v12, v8, vcc
	v_cvt_f64_f32_e32 v[8:9], v10
	v_mul_f64 v[8:9], v[8:9], s[2:3]
	v_and_or_b32 v8, v9, s6, v8
	v_cmp_ne_u32_e32 vcc, 0, v8
	v_lshrrev_b32_e32 v10, 8, v9
	v_bfe_u32 v12, v9, 20, 11
	v_cndmask_b32_e64 v8, 0, 1, vcc
	v_and_or_b32 v8, v10, s7, v8
	v_sub_u32_e32 v13, 0x3f1, v12
	v_or_b32_e32 v10, 0x1000, v8
	v_med3_i32 v13, v13, 0, 13
	v_lshrrev_b32_e32 v17, v13, v10
	v_lshlrev_b32_e32 v13, v13, v17
	v_cmp_ne_u32_e32 vcc, v13, v10
	v_add_u32_e32 v12, 0xfffffc10, v12
	v_lshl_or_b32 v13, v12, 12, v8
	v_cndmask_b32_e64 v10, 0, 1, vcc
	v_or_b32_e32 v10, v17, v10
	v_cmp_gt_i32_e32 vcc, 1, v12
	s_nop 1
	v_cndmask_b32_e32 v10, v13, v10, vcc
	v_and_b32_e32 v13, 7, v10
	v_cmp_lt_i32_e32 vcc, 5, v13
	v_cmp_eq_u32_e64 s[0:1], 3, v13
	v_lshrrev_b32_e32 v10, 2, v10
	s_or_b64 vcc, s[0:1], vcc
	v_addc_co_u32_e32 v10, vcc, 0, v10, vcc
	v_cmp_gt_i32_e32 vcc, 31, v12
	v_mad_u64_u32 v[6:7], s[0:1], s4, v1, v[6:7]
	s_nop 0
	v_cndmask_b32_e32 v10, v4, v10, vcc
	v_cmp_ne_u32_e32 vcc, 0, v8
	v_add_u32_e32 v7, s5, v7
	s_nop 0
	v_cndmask_b32_e64 v8, 0, 1, vcc
	v_cmp_eq_u32_e32 vcc, s8, v12
	ds_read2_b32 v[12:13], v5 offset0:112 offset1:190
	v_lshl_or_b32 v8, v8, 9, v4
	v_cndmask_b32_e32 v8, v10, v8, vcc
	v_lshrrev_b32_e32 v5, 16, v9
	v_and_or_b32 v5, v5, s9, v8
	v_bitop3_b32 v8, v16, s10, v14 bitop3:0xc8
	s_waitcnt lgkmcnt(0)
	v_lshrrev_b32_e32 v10, 16, v12
	v_lshl_or_b32 v5, v5, 16, v8
	v_mul_f16_sdwa v8, v49, v10 dst_sel:DWORD dst_unused:UNUSED_PAD src0_sel:WORD_1 src1_sel:DWORD
	v_fma_f16 v8, v49, v12, v8
	v_cvt_f32_f16_e32 v8, v8
	global_store_dword v[6:7], v5, off
	v_mul_f16_sdwa v12, v49, v12 dst_sel:DWORD dst_unused:UNUSED_PAD src0_sel:WORD_1 src1_sel:DWORD
	v_fma_f16 v10, v49, v10, -v12
	v_cvt_f64_f32_e32 v[8:9], v8
	v_mul_f64 v[8:9], v[8:9], s[2:3]
	v_and_or_b32 v5, v9, s6, v8
	v_cmp_ne_u32_e32 vcc, 0, v5
	v_lshrrev_b32_e32 v8, 8, v9
	v_bfe_u32 v14, v9, 20, 11
	v_cndmask_b32_e64 v5, 0, 1, vcc
	v_and_or_b32 v5, v8, s7, v5
	v_sub_u32_e32 v16, 0x3f1, v14
	v_or_b32_e32 v8, 0x1000, v5
	v_med3_i32 v16, v16, 0, 13
	v_lshrrev_b32_e32 v17, v16, v8
	v_lshlrev_b32_e32 v16, v16, v17
	v_cmp_ne_u32_e32 vcc, v16, v8
	v_add_u32_e32 v14, 0xfffffc10, v14
	v_lshl_or_b32 v16, v14, 12, v5
	v_cndmask_b32_e64 v8, 0, 1, vcc
	v_or_b32_e32 v8, v17, v8
	v_cmp_gt_i32_e32 vcc, 1, v14
	v_cvt_f32_f16_e32 v10, v10
	v_and_b32_sdwa v12, v9, s9 dst_sel:DWORD dst_unused:UNUSED_PAD src0_sel:WORD_1 src1_sel:DWORD
	v_cndmask_b32_e32 v8, v16, v8, vcc
	v_and_b32_e32 v16, 7, v8
	v_cmp_lt_i32_e32 vcc, 5, v16
	v_cmp_eq_u32_e64 s[0:1], 3, v16
	v_lshrrev_b32_e32 v8, 2, v8
	s_or_b64 vcc, s[0:1], vcc
	v_addc_co_u32_e32 v8, vcc, 0, v8, vcc
	v_cmp_gt_i32_e32 vcc, 31, v14
	s_nop 1
	v_cndmask_b32_e32 v8, v4, v8, vcc
	v_cmp_ne_u32_e32 vcc, 0, v5
	s_nop 1
	v_cndmask_b32_e64 v5, 0, 1, vcc
	v_lshl_or_b32 v5, v5, 9, v4
	v_cmp_eq_u32_e32 vcc, s8, v14
	s_nop 1
	v_cndmask_b32_e32 v5, v8, v5, vcc
	v_cvt_f64_f32_e32 v[8:9], v10
	v_mul_f64 v[8:9], v[8:9], s[2:3]
	v_and_or_b32 v8, v9, s6, v8
	v_cmp_ne_u32_e32 vcc, 0, v8
	v_lshrrev_b32_e32 v10, 8, v9
	v_bfe_u32 v14, v9, 20, 11
	v_cndmask_b32_e64 v8, 0, 1, vcc
	v_and_or_b32 v8, v10, s7, v8
	v_sub_u32_e32 v16, 0x3f1, v14
	v_or_b32_e32 v10, 0x1000, v8
	v_med3_i32 v16, v16, 0, 13
	v_lshrrev_b32_e32 v17, v16, v10
	v_lshlrev_b32_e32 v16, v16, v17
	v_cmp_ne_u32_e32 vcc, v16, v10
	v_add_u32_e32 v14, 0xfffffc10, v14
	v_lshl_or_b32 v16, v14, 12, v8
	v_cndmask_b32_e64 v10, 0, 1, vcc
	v_or_b32_e32 v10, v17, v10
	v_cmp_gt_i32_e32 vcc, 1, v14
	v_lshrrev_b32_e32 v9, 16, v9
	v_bitop3_b32 v5, v12, s10, v5 bitop3:0xc8
	v_cndmask_b32_e32 v10, v16, v10, vcc
	v_and_b32_e32 v16, 7, v10
	v_cmp_lt_i32_e32 vcc, 5, v16
	v_cmp_eq_u32_e64 s[0:1], 3, v16
	v_lshrrev_b32_e32 v10, 2, v10
	s_or_b64 vcc, s[0:1], vcc
	v_addc_co_u32_e32 v10, vcc, 0, v10, vcc
	v_cmp_gt_i32_e32 vcc, 31, v14
	v_mad_u64_u32 v[6:7], s[0:1], s4, v0, v[6:7]
	s_nop 0
	v_cndmask_b32_e32 v10, v4, v10, vcc
	v_cmp_ne_u32_e32 vcc, 0, v8
	v_add_u32_e32 v7, s11, v7
	s_nop 0
	v_cndmask_b32_e64 v8, 0, 1, vcc
	v_lshl_or_b32 v8, v8, 9, v4
	v_cmp_eq_u32_e32 vcc, s8, v14
	s_nop 1
	v_cndmask_b32_e32 v8, v10, v8, vcc
	v_and_or_b32 v8, v9, s9, v8
	v_lshrrev_b32_e32 v10, 16, v11
	v_lshl_or_b32 v5, v8, 16, v5
	v_mul_f16_sdwa v8, v48, v10 dst_sel:DWORD dst_unused:UNUSED_PAD src0_sel:WORD_1 src1_sel:DWORD
	v_fma_f16 v8, v48, v11, v8
	v_cvt_f32_f16_e32 v8, v8
	global_store_dword v[6:7], v5, off
	v_mul_f16_sdwa v11, v48, v11 dst_sel:DWORD dst_unused:UNUSED_PAD src0_sel:WORD_1 src1_sel:DWORD
	v_fma_f16 v10, v48, v10, -v11
	v_cvt_f64_f32_e32 v[8:9], v8
	v_mul_f64 v[8:9], v[8:9], s[2:3]
	v_and_or_b32 v5, v9, s6, v8
	v_cmp_ne_u32_e32 vcc, 0, v5
	v_lshrrev_b32_e32 v8, 8, v9
	v_bfe_u32 v12, v9, 20, 11
	v_cndmask_b32_e64 v5, 0, 1, vcc
	v_and_or_b32 v5, v8, s7, v5
	v_sub_u32_e32 v14, 0x3f1, v12
	v_or_b32_e32 v8, 0x1000, v5
	v_med3_i32 v14, v14, 0, 13
	v_lshrrev_b32_e32 v16, v14, v8
	v_lshlrev_b32_e32 v14, v14, v16
	v_cmp_ne_u32_e32 vcc, v14, v8
	v_add_u32_e32 v12, 0xfffffc10, v12
	v_lshl_or_b32 v14, v12, 12, v5
	v_cndmask_b32_e64 v8, 0, 1, vcc
	v_or_b32_e32 v8, v16, v8
	v_cmp_gt_i32_e32 vcc, 1, v12
	v_cvt_f32_f16_e32 v10, v10
	v_and_b32_sdwa v11, v9, s9 dst_sel:DWORD dst_unused:UNUSED_PAD src0_sel:WORD_1 src1_sel:DWORD
	v_cndmask_b32_e32 v8, v14, v8, vcc
	v_and_b32_e32 v14, 7, v8
	v_cmp_lt_i32_e32 vcc, 5, v14
	v_cmp_eq_u32_e64 s[0:1], 3, v14
	v_lshrrev_b32_e32 v8, 2, v8
	s_or_b64 vcc, s[0:1], vcc
	v_addc_co_u32_e32 v8, vcc, 0, v8, vcc
	v_cmp_gt_i32_e32 vcc, 31, v12
	s_nop 1
	v_cndmask_b32_e32 v8, v4, v8, vcc
	v_cmp_ne_u32_e32 vcc, 0, v5
	s_nop 1
	v_cndmask_b32_e64 v5, 0, 1, vcc
	v_lshl_or_b32 v5, v5, 9, v4
	v_cmp_eq_u32_e32 vcc, s8, v12
	s_nop 1
	v_cndmask_b32_e32 v5, v8, v5, vcc
	v_cvt_f64_f32_e32 v[8:9], v10
	v_mul_f64 v[8:9], v[8:9], s[2:3]
	v_and_or_b32 v8, v9, s6, v8
	v_cmp_ne_u32_e32 vcc, 0, v8
	v_lshrrev_b32_e32 v10, 8, v9
	v_bfe_u32 v12, v9, 20, 11
	v_cndmask_b32_e64 v8, 0, 1, vcc
	v_and_or_b32 v8, v10, s7, v8
	v_sub_u32_e32 v14, 0x3f1, v12
	v_or_b32_e32 v10, 0x1000, v8
	v_med3_i32 v14, v14, 0, 13
	v_lshrrev_b32_e32 v16, v14, v10
	v_lshlrev_b32_e32 v14, v14, v16
	v_cmp_ne_u32_e32 vcc, v14, v10
	v_add_u32_e32 v12, 0xfffffc10, v12
	v_lshl_or_b32 v14, v12, 12, v8
	v_cndmask_b32_e64 v10, 0, 1, vcc
	v_or_b32_e32 v10, v16, v10
	v_cmp_gt_i32_e32 vcc, 1, v12
	v_lshrrev_b32_e32 v9, 16, v9
	v_bitop3_b32 v5, v11, s10, v5 bitop3:0xc8
	v_cndmask_b32_e32 v10, v14, v10, vcc
	v_and_b32_e32 v14, 7, v10
	v_cmp_lt_i32_e32 vcc, 5, v14
	v_cmp_eq_u32_e64 s[0:1], 3, v14
	v_lshrrev_b32_e32 v10, 2, v10
	s_or_b64 vcc, s[0:1], vcc
	v_addc_co_u32_e32 v10, vcc, 0, v10, vcc
	v_cmp_gt_i32_e32 vcc, 31, v12
	v_mad_u64_u32 v[6:7], s[0:1], s4, v1, v[6:7]
	s_nop 0
	v_cndmask_b32_e32 v10, v4, v10, vcc
	v_cmp_ne_u32_e32 vcc, 0, v8
	v_add_u32_e32 v7, s5, v7
	s_nop 0
	v_cndmask_b32_e64 v8, 0, 1, vcc
	v_lshl_or_b32 v8, v8, 9, v4
	v_cmp_eq_u32_e32 vcc, s8, v12
	s_nop 1
	v_cndmask_b32_e32 v8, v10, v8, vcc
	v_and_or_b32 v8, v9, s9, v8
	v_lshrrev_b32_e32 v10, 16, v13
	v_lshl_or_b32 v5, v8, 16, v5
	v_mul_f16_sdwa v8, v47, v10 dst_sel:DWORD dst_unused:UNUSED_PAD src0_sel:WORD_1 src1_sel:DWORD
	v_fma_f16 v8, v47, v13, v8
	v_cvt_f32_f16_e32 v8, v8
	global_store_dword v[6:7], v5, off
	v_cvt_f64_f32_e32 v[8:9], v8
	v_mul_f64 v[8:9], v[8:9], s[2:3]
	v_and_or_b32 v5, v9, s6, v8
	v_cmp_ne_u32_e32 vcc, 0, v5
	v_lshrrev_b32_e32 v8, 8, v9
	v_bfe_u32 v11, v9, 20, 11
	v_cndmask_b32_e64 v5, 0, 1, vcc
	v_and_or_b32 v5, v8, s7, v5
	v_sub_u32_e32 v12, 0x3f1, v11
	v_or_b32_e32 v8, 0x1000, v5
	v_med3_i32 v12, v12, 0, 13
	v_lshrrev_b32_e32 v14, v12, v8
	v_lshlrev_b32_e32 v12, v12, v14
	v_cmp_ne_u32_e32 vcc, v12, v8
	v_add_u32_e32 v11, 0xfffffc10, v11
	v_lshl_or_b32 v12, v11, 12, v5
	v_cndmask_b32_e64 v8, 0, 1, vcc
	v_or_b32_e32 v8, v14, v8
	v_cmp_gt_i32_e32 vcc, 1, v11
	s_nop 1
	v_cndmask_b32_e32 v8, v12, v8, vcc
	v_and_b32_e32 v12, 7, v8
	v_cmp_lt_i32_e32 vcc, 5, v12
	v_cmp_eq_u32_e64 s[0:1], 3, v12
	v_lshrrev_b32_e32 v8, 2, v8
	s_or_b64 vcc, s[0:1], vcc
	v_mul_f16_sdwa v12, v47, v13 dst_sel:DWORD dst_unused:UNUSED_PAD src0_sel:WORD_1 src1_sel:DWORD
	v_addc_co_u32_e32 v8, vcc, 0, v8, vcc
	v_fma_f16 v10, v47, v10, -v12
	v_cmp_gt_i32_e32 vcc, 31, v11
	v_cvt_f32_f16_e32 v10, v10
	v_and_b32_sdwa v12, v9, s9 dst_sel:DWORD dst_unused:UNUSED_PAD src0_sel:WORD_1 src1_sel:DWORD
	v_cndmask_b32_e32 v8, v4, v8, vcc
	v_cmp_ne_u32_e32 vcc, 0, v5
	s_nop 1
	v_cndmask_b32_e64 v5, 0, 1, vcc
	v_lshl_or_b32 v5, v5, 9, v4
	v_cmp_eq_u32_e32 vcc, s8, v11
	s_nop 1
	v_cndmask_b32_e32 v5, v8, v5, vcc
	v_cvt_f64_f32_e32 v[8:9], v10
	v_mul_f64 v[8:9], v[8:9], s[2:3]
	v_and_or_b32 v8, v9, s6, v8
	v_cmp_ne_u32_e32 vcc, 0, v8
	v_lshrrev_b32_e32 v10, 8, v9
	v_bfe_u32 v11, v9, 20, 11
	v_cndmask_b32_e64 v8, 0, 1, vcc
	v_and_or_b32 v8, v10, s7, v8
	v_sub_u32_e32 v13, 0x3f1, v11
	v_or_b32_e32 v10, 0x1000, v8
	v_med3_i32 v13, v13, 0, 13
	v_lshrrev_b32_e32 v14, v13, v10
	v_lshlrev_b32_e32 v13, v13, v14
	v_cmp_ne_u32_e32 vcc, v13, v10
	v_add_u32_e32 v11, 0xfffffc10, v11
	v_lshl_or_b32 v13, v11, 12, v8
	v_cndmask_b32_e64 v10, 0, 1, vcc
	v_or_b32_e32 v10, v14, v10
	v_cmp_gt_i32_e32 vcc, 1, v11
	v_bitop3_b32 v5, v12, s10, v5 bitop3:0xc8
	s_nop 0
	v_cndmask_b32_e32 v10, v13, v10, vcc
	v_and_b32_e32 v13, 7, v10
	v_cmp_lt_i32_e32 vcc, 5, v13
	v_cmp_eq_u32_e64 s[0:1], 3, v13
	v_lshrrev_b32_e32 v10, 2, v10
	s_or_b64 vcc, s[0:1], vcc
	v_addc_co_u32_e32 v10, vcc, 0, v10, vcc
	v_cmp_gt_i32_e32 vcc, 31, v11
	v_mad_u64_u32 v[6:7], s[0:1], s4, v0, v[6:7]
	s_nop 0
	v_cndmask_b32_e32 v10, v4, v10, vcc
	v_cmp_ne_u32_e32 vcc, 0, v8
	v_add_u32_e32 v7, s11, v7
	s_nop 0
	v_cndmask_b32_e64 v8, 0, 1, vcc
	v_lshl_or_b32 v8, v8, 9, v4
	v_cmp_eq_u32_e32 vcc, s8, v11
	s_nop 1
	v_cndmask_b32_e32 v8, v10, v8, vcc
	ds_read2_b32 v[10:11], v3 offset0:56 offset1:134
	v_lshrrev_b32_e32 v3, 16, v9
	v_and_or_b32 v3, v3, s9, v8
	v_lshl_or_b32 v3, v3, 16, v5
	global_store_dword v[6:7], v3, off
	s_waitcnt lgkmcnt(0)
	v_lshrrev_b32_e32 v5, 16, v10
	v_mul_f16_sdwa v8, v46, v5 dst_sel:DWORD dst_unused:UNUSED_PAD src0_sel:WORD_1 src1_sel:DWORD
	v_fma_f16 v8, v46, v10, v8
	v_cvt_f32_f16_e32 v8, v8
	v_mul_f16_sdwa v10, v46, v10 dst_sel:DWORD dst_unused:UNUSED_PAD src0_sel:WORD_1 src1_sel:DWORD
	v_fma_f16 v5, v46, v5, -v10
	v_cvt_f32_f16_e32 v5, v5
	v_cvt_f64_f32_e32 v[8:9], v8
	v_mul_f64 v[8:9], v[8:9], s[2:3]
	v_and_or_b32 v3, v9, s6, v8
	v_cmp_ne_u32_e32 vcc, 0, v3
	v_lshrrev_b32_e32 v8, 8, v9
	v_bfe_u32 v12, v9, 20, 11
	v_cndmask_b32_e64 v3, 0, 1, vcc
	v_and_or_b32 v3, v8, s7, v3
	v_sub_u32_e32 v13, 0x3f1, v12
	v_or_b32_e32 v8, 0x1000, v3
	v_med3_i32 v13, v13, 0, 13
	v_lshrrev_b32_e32 v14, v13, v8
	v_lshlrev_b32_e32 v13, v13, v14
	v_cmp_ne_u32_e32 vcc, v13, v8
	v_add_u32_e32 v12, 0xfffffc10, v12
	v_lshl_or_b32 v13, v12, 12, v3
	v_cndmask_b32_e64 v8, 0, 1, vcc
	v_or_b32_e32 v8, v14, v8
	v_cmp_gt_i32_e32 vcc, 1, v12
	s_nop 1
	v_cndmask_b32_e32 v8, v13, v8, vcc
	v_and_b32_e32 v13, 7, v8
	v_cmp_lt_i32_e32 vcc, 5, v13
	v_cmp_eq_u32_e64 s[0:1], 3, v13
	v_lshrrev_b32_e32 v8, 2, v8
	s_or_b64 vcc, s[0:1], vcc
	v_addc_co_u32_e32 v8, vcc, 0, v8, vcc
	v_cmp_gt_i32_e32 vcc, 31, v12
	s_nop 1
	v_cndmask_b32_e32 v8, v4, v8, vcc
	v_cmp_ne_u32_e32 vcc, 0, v3
	s_nop 1
	v_cndmask_b32_e64 v3, 0, 1, vcc
	v_lshl_or_b32 v3, v3, 9, v4
	v_cmp_eq_u32_e32 vcc, s8, v12
	v_and_b32_sdwa v12, v9, s9 dst_sel:DWORD dst_unused:UNUSED_PAD src0_sel:WORD_1 src1_sel:DWORD
	s_nop 0
	v_cndmask_b32_e32 v10, v8, v3, vcc
	v_cvt_f64_f32_e32 v[8:9], v5
	v_mul_f64 v[8:9], v[8:9], s[2:3]
	v_and_or_b32 v3, v9, s6, v8
	v_cmp_ne_u32_e32 vcc, 0, v3
	v_lshrrev_b32_e32 v5, 8, v9
	v_bfe_u32 v8, v9, 20, 11
	v_cndmask_b32_e64 v3, 0, 1, vcc
	v_and_or_b32 v3, v5, s7, v3
	v_sub_u32_e32 v13, 0x3f1, v8
	v_or_b32_e32 v5, 0x1000, v3
	v_med3_i32 v13, v13, 0, 13
	v_lshrrev_b32_e32 v14, v13, v5
	v_lshlrev_b32_e32 v13, v13, v14
	v_cmp_ne_u32_e32 vcc, v13, v5
	v_add_u32_e32 v8, 0xfffffc10, v8
	v_lshl_or_b32 v13, v8, 12, v3
	v_cndmask_b32_e64 v5, 0, 1, vcc
	v_or_b32_e32 v5, v14, v5
	v_cmp_gt_i32_e32 vcc, 1, v8
	s_nop 1
	v_cndmask_b32_e32 v5, v13, v5, vcc
	v_and_b32_e32 v13, 7, v5
	v_cmp_lt_i32_e32 vcc, 5, v13
	v_cmp_eq_u32_e64 s[0:1], 3, v13
	v_lshrrev_b32_e32 v5, 2, v5
	s_or_b64 vcc, s[0:1], vcc
	v_addc_co_u32_e32 v5, vcc, 0, v5, vcc
	v_cmp_gt_i32_e32 vcc, 31, v8
	v_mad_u64_u32 v[6:7], s[0:1], s4, v1, v[6:7]
	s_nop 0
	v_cndmask_b32_e32 v5, v4, v5, vcc
	v_cmp_ne_u32_e32 vcc, 0, v3
	v_add_u32_e32 v7, s5, v7
	s_nop 0
	v_cndmask_b32_e64 v3, 0, 1, vcc
	v_lshl_or_b32 v3, v3, 9, v4
	v_cmp_eq_u32_e32 vcc, s8, v8
	v_lshrrev_b32_e32 v8, 16, v9
	s_nop 0
	v_cndmask_b32_e32 v5, v5, v3, vcc
	ds_read2_b32 v[2:3], v2 offset0:12 offset1:90
	v_and_or_b32 v5, v8, s9, v5
	v_bitop3_b32 v8, v12, s10, v10 bitop3:0xc8
	v_lshl_or_b32 v5, v5, 16, v8
	global_store_dword v[6:7], v5, off
	s_waitcnt lgkmcnt(0)
	v_lshrrev_b32_e32 v10, 16, v2
	v_mul_f16_sdwa v8, v45, v10 dst_sel:DWORD dst_unused:UNUSED_PAD src0_sel:WORD_1 src1_sel:DWORD
	v_fma_f16 v8, v45, v2, v8
	v_cvt_f32_f16_e32 v8, v8
	v_mul_f16_sdwa v2, v45, v2 dst_sel:DWORD dst_unused:UNUSED_PAD src0_sel:WORD_1 src1_sel:DWORD
	v_fma_f16 v2, v45, v10, -v2
	v_cvt_f32_f16_e32 v2, v2
	v_cvt_f64_f32_e32 v[8:9], v8
	v_mul_f64 v[8:9], v[8:9], s[2:3]
	v_and_or_b32 v5, v9, s6, v8
	v_cmp_ne_u32_e32 vcc, 0, v5
	v_lshrrev_b32_e32 v8, 8, v9
	v_bfe_u32 v12, v9, 20, 11
	v_cndmask_b32_e64 v5, 0, 1, vcc
	v_and_or_b32 v5, v8, s7, v5
	v_sub_u32_e32 v13, 0x3f1, v12
	v_or_b32_e32 v8, 0x1000, v5
	v_med3_i32 v13, v13, 0, 13
	v_lshrrev_b32_e32 v14, v13, v8
	v_lshlrev_b32_e32 v13, v13, v14
	v_cmp_ne_u32_e32 vcc, v13, v8
	v_add_u32_e32 v12, 0xfffffc10, v12
	v_lshl_or_b32 v13, v12, 12, v5
	v_cndmask_b32_e64 v8, 0, 1, vcc
	v_or_b32_e32 v8, v14, v8
	v_cmp_gt_i32_e32 vcc, 1, v12
	v_and_b32_sdwa v10, v9, s9 dst_sel:DWORD dst_unused:UNUSED_PAD src0_sel:WORD_1 src1_sel:DWORD
	s_nop 0
	v_cndmask_b32_e32 v8, v13, v8, vcc
	v_and_b32_e32 v13, 7, v8
	v_cmp_lt_i32_e32 vcc, 5, v13
	v_cmp_eq_u32_e64 s[0:1], 3, v13
	v_lshrrev_b32_e32 v8, 2, v8
	s_or_b64 vcc, s[0:1], vcc
	v_addc_co_u32_e32 v8, vcc, 0, v8, vcc
	v_cmp_gt_i32_e32 vcc, 31, v12
	s_nop 1
	v_cndmask_b32_e32 v8, v4, v8, vcc
	v_cmp_ne_u32_e32 vcc, 0, v5
	s_nop 1
	v_cndmask_b32_e64 v5, 0, 1, vcc
	v_lshl_or_b32 v5, v5, 9, v4
	v_cmp_eq_u32_e32 vcc, s8, v12
	s_nop 1
	v_cndmask_b32_e32 v5, v8, v5, vcc
	v_cvt_f64_f32_e32 v[8:9], v2
	v_mul_f64 v[8:9], v[8:9], s[2:3]
	v_and_or_b32 v2, v9, s6, v8
	v_cmp_ne_u32_e32 vcc, 0, v2
	v_lshrrev_b32_e32 v8, 8, v9
	v_bfe_u32 v12, v9, 20, 11
	v_cndmask_b32_e64 v2, 0, 1, vcc
	v_and_or_b32 v2, v8, s7, v2
	v_sub_u32_e32 v13, 0x3f1, v12
	v_or_b32_e32 v8, 0x1000, v2
	v_med3_i32 v13, v13, 0, 13
	v_lshrrev_b32_e32 v14, v13, v8
	v_lshlrev_b32_e32 v13, v13, v14
	v_cmp_ne_u32_e32 vcc, v13, v8
	v_add_u32_e32 v12, 0xfffffc10, v12
	v_lshl_or_b32 v13, v12, 12, v2
	v_cndmask_b32_e64 v8, 0, 1, vcc
	v_or_b32_e32 v8, v14, v8
	v_cmp_gt_i32_e32 vcc, 1, v12
	v_bitop3_b32 v5, v10, s10, v5 bitop3:0xc8
	s_nop 0
	v_cndmask_b32_e32 v8, v13, v8, vcc
	v_and_b32_e32 v13, 7, v8
	v_cmp_lt_i32_e32 vcc, 5, v13
	v_cmp_eq_u32_e64 s[0:1], 3, v13
	v_lshrrev_b32_e32 v8, 2, v8
	s_or_b64 vcc, s[0:1], vcc
	v_addc_co_u32_e32 v8, vcc, 0, v8, vcc
	v_cmp_gt_i32_e32 vcc, 31, v12
	v_mad_u64_u32 v[6:7], s[0:1], s4, v0, v[6:7]
	s_nop 0
	v_cndmask_b32_e32 v8, v4, v8, vcc
	v_cmp_ne_u32_e32 vcc, 0, v2
	v_add_u32_e32 v7, s11, v7
	s_nop 0
	v_cndmask_b32_e64 v2, 0, 1, vcc
	v_lshl_or_b32 v2, v2, 9, v4
	v_cmp_eq_u32_e32 vcc, s8, v12
	s_nop 1
	v_cndmask_b32_e32 v2, v8, v2, vcc
	v_lshrrev_b32_e32 v8, 16, v9
	v_and_or_b32 v2, v8, s9, v2
	v_lshl_or_b32 v2, v2, 16, v5
	v_lshrrev_b32_e32 v5, 16, v11
	v_mul_f16_sdwa v8, v44, v5 dst_sel:DWORD dst_unused:UNUSED_PAD src0_sel:WORD_1 src1_sel:DWORD
	v_fma_f16 v8, v44, v11, v8
	v_cvt_f32_f16_e32 v8, v8
	global_store_dword v[6:7], v2, off
	v_mul_f16_sdwa v11, v44, v11 dst_sel:DWORD dst_unused:UNUSED_PAD src0_sel:WORD_1 src1_sel:DWORD
	v_fma_f16 v5, v44, v5, -v11
	v_cvt_f64_f32_e32 v[8:9], v8
	v_mul_f64 v[8:9], v[8:9], s[2:3]
	v_and_or_b32 v2, v9, s6, v8
	v_cmp_ne_u32_e32 vcc, 0, v2
	v_lshrrev_b32_e32 v8, 8, v9
	v_bfe_u32 v10, v9, 20, 11
	v_cndmask_b32_e64 v2, 0, 1, vcc
	v_and_or_b32 v2, v8, s7, v2
	v_sub_u32_e32 v12, 0x3f1, v10
	v_or_b32_e32 v8, 0x1000, v2
	v_med3_i32 v12, v12, 0, 13
	v_lshrrev_b32_e32 v13, v12, v8
	v_lshlrev_b32_e32 v12, v12, v13
	v_cmp_ne_u32_e32 vcc, v12, v8
	v_add_u32_e32 v10, 0xfffffc10, v10
	v_lshl_or_b32 v12, v10, 12, v2
	v_cndmask_b32_e64 v8, 0, 1, vcc
	v_or_b32_e32 v8, v13, v8
	v_cmp_gt_i32_e32 vcc, 1, v10
	v_cvt_f32_f16_e32 v5, v5
	s_nop 0
	v_cndmask_b32_e32 v8, v12, v8, vcc
	v_and_b32_e32 v12, 7, v8
	v_cmp_lt_i32_e32 vcc, 5, v12
	v_cmp_eq_u32_e64 s[0:1], 3, v12
	v_lshrrev_b32_e32 v8, 2, v8
	s_or_b64 vcc, s[0:1], vcc
	v_addc_co_u32_e32 v8, vcc, 0, v8, vcc
	v_cmp_gt_i32_e32 vcc, 31, v10
	s_nop 1
	v_cndmask_b32_e32 v8, v4, v8, vcc
	v_cmp_ne_u32_e32 vcc, 0, v2
	s_nop 1
	v_cndmask_b32_e64 v2, 0, 1, vcc
	v_lshl_or_b32 v2, v2, 9, v4
	v_cmp_eq_u32_e32 vcc, s8, v10
	v_and_b32_sdwa v10, v9, s9 dst_sel:DWORD dst_unused:UNUSED_PAD src0_sel:WORD_1 src1_sel:DWORD
	s_nop 0
	v_cndmask_b32_e32 v2, v8, v2, vcc
	v_cvt_f64_f32_e32 v[8:9], v5
	v_mul_f64 v[8:9], v[8:9], s[2:3]
	v_and_or_b32 v5, v9, s6, v8
	v_cmp_ne_u32_e32 vcc, 0, v5
	v_lshrrev_b32_e32 v8, 8, v9
	v_bfe_u32 v11, v9, 20, 11
	v_cndmask_b32_e64 v5, 0, 1, vcc
	v_and_or_b32 v5, v8, s7, v5
	v_sub_u32_e32 v12, 0x3f1, v11
	v_or_b32_e32 v8, 0x1000, v5
	v_med3_i32 v12, v12, 0, 13
	v_lshrrev_b32_e32 v13, v12, v8
	v_lshlrev_b32_e32 v12, v12, v13
	v_cmp_ne_u32_e32 vcc, v12, v8
	v_add_u32_e32 v11, 0xfffffc10, v11
	v_lshl_or_b32 v12, v11, 12, v5
	v_cndmask_b32_e64 v8, 0, 1, vcc
	v_or_b32_e32 v8, v13, v8
	v_cmp_gt_i32_e32 vcc, 1, v11
	v_bitop3_b32 v2, v10, s10, v2 bitop3:0xc8
	s_nop 0
	v_cndmask_b32_e32 v8, v12, v8, vcc
	v_and_b32_e32 v12, 7, v8
	v_cmp_lt_i32_e32 vcc, 5, v12
	v_cmp_eq_u32_e64 s[0:1], 3, v12
	v_lshrrev_b32_e32 v8, 2, v8
	s_or_b64 vcc, s[0:1], vcc
	v_addc_co_u32_e32 v8, vcc, 0, v8, vcc
	v_cmp_gt_i32_e32 vcc, 31, v11
	v_mad_u64_u32 v[6:7], s[0:1], s4, v1, v[6:7]
	s_nop 0
	v_cndmask_b32_e32 v8, v4, v8, vcc
	v_cmp_ne_u32_e32 vcc, 0, v5
	v_add_u32_e32 v7, s5, v7
	s_nop 0
	v_cndmask_b32_e64 v5, 0, 1, vcc
	v_lshl_or_b32 v5, v5, 9, v4
	v_cmp_eq_u32_e32 vcc, s8, v11
	s_nop 1
	v_cndmask_b32_e32 v5, v8, v5, vcc
	v_lshrrev_b32_e32 v8, 16, v9
	v_and_or_b32 v5, v8, s9, v5
	v_lshl_or_b32 v2, v5, 16, v2
	v_lshrrev_b32_e32 v5, 16, v3
	v_mul_f16_sdwa v8, v15, v5 dst_sel:DWORD dst_unused:UNUSED_PAD src0_sel:WORD_1 src1_sel:DWORD
	v_fma_f16 v8, v15, v3, v8
	v_cvt_f32_f16_e32 v8, v8
	global_store_dword v[6:7], v2, off
	v_mul_f16_sdwa v3, v15, v3 dst_sel:DWORD dst_unused:UNUSED_PAD src0_sel:WORD_1 src1_sel:DWORD
	v_fma_f16 v3, v15, v5, -v3
	v_cvt_f64_f32_e32 v[8:9], v8
	v_mul_f64 v[8:9], v[8:9], s[2:3]
	v_and_or_b32 v1, v9, s6, v8
	v_cmp_ne_u32_e32 vcc, 0, v1
	v_lshrrev_b32_e32 v2, 8, v9
	v_bfe_u32 v8, v9, 20, 11
	v_cndmask_b32_e64 v1, 0, 1, vcc
	v_and_or_b32 v1, v2, s7, v1
	v_sub_u32_e32 v10, 0x3f1, v8
	v_or_b32_e32 v2, 0x1000, v1
	v_med3_i32 v10, v10, 0, 13
	v_lshrrev_b32_e32 v11, v10, v2
	v_lshlrev_b32_e32 v10, v10, v11
	v_cmp_ne_u32_e32 vcc, v10, v2
	v_add_u32_e32 v8, 0xfffffc10, v8
	v_lshl_or_b32 v10, v8, 12, v1
	v_cndmask_b32_e64 v2, 0, 1, vcc
	v_or_b32_e32 v2, v11, v2
	v_cmp_gt_i32_e32 vcc, 1, v8
	v_cvt_f32_f16_e32 v3, v3
	v_and_b32_sdwa v5, v9, s9 dst_sel:DWORD dst_unused:UNUSED_PAD src0_sel:WORD_1 src1_sel:DWORD
	v_cndmask_b32_e32 v2, v10, v2, vcc
	v_and_b32_e32 v10, 7, v2
	v_cmp_lt_i32_e32 vcc, 5, v10
	v_cmp_eq_u32_e64 s[0:1], 3, v10
	v_lshrrev_b32_e32 v2, 2, v2
	s_or_b64 vcc, s[0:1], vcc
	v_addc_co_u32_e32 v2, vcc, 0, v2, vcc
	v_cmp_gt_i32_e32 vcc, 31, v8
	s_nop 1
	v_cndmask_b32_e32 v2, v4, v2, vcc
	v_cmp_ne_u32_e32 vcc, 0, v1
	s_nop 1
	v_cndmask_b32_e64 v1, 0, 1, vcc
	v_lshl_or_b32 v1, v1, 9, v4
	v_cmp_eq_u32_e32 vcc, s8, v8
	s_nop 1
	v_cndmask_b32_e32 v1, v2, v1, vcc
	v_cvt_f64_f32_e32 v[2:3], v3
	v_mul_f64 v[2:3], v[2:3], s[2:3]
	v_and_or_b32 v2, v3, s6, v2
	v_cmp_ne_u32_e32 vcc, 0, v2
	v_lshrrev_b32_e32 v8, 8, v3
	v_bfe_u32 v9, v3, 20, 11
	v_cndmask_b32_e64 v2, 0, 1, vcc
	v_and_or_b32 v2, v8, s7, v2
	v_sub_u32_e32 v10, 0x3f1, v9
	v_or_b32_e32 v8, 0x1000, v2
	v_med3_i32 v10, v10, 0, 13
	v_lshrrev_b32_e32 v11, v10, v8
	v_lshlrev_b32_e32 v10, v10, v11
	v_cmp_ne_u32_e32 vcc, v10, v8
	v_add_u32_e32 v9, 0xfffffc10, v9
	v_lshl_or_b32 v10, v9, 12, v2
	v_cndmask_b32_e64 v8, 0, 1, vcc
	v_or_b32_e32 v8, v11, v8
	v_cmp_gt_i32_e32 vcc, 1, v9
	v_lshrrev_b32_e32 v3, 16, v3
	v_bitop3_b32 v1, v5, s10, v1 bitop3:0xc8
	v_cndmask_b32_e32 v8, v10, v8, vcc
	v_and_b32_e32 v10, 7, v8
	v_cmp_lt_i32_e32 vcc, 5, v10
	v_cmp_eq_u32_e64 s[0:1], 3, v10
	v_lshrrev_b32_e32 v8, 2, v8
	s_or_b64 vcc, s[0:1], vcc
	v_addc_co_u32_e32 v8, vcc, 0, v8, vcc
	v_cmp_gt_i32_e32 vcc, 31, v9
	s_nop 1
	v_cndmask_b32_e32 v8, v4, v8, vcc
	v_cmp_ne_u32_e32 vcc, 0, v2
	s_nop 1
	v_cndmask_b32_e64 v2, 0, 1, vcc
	v_lshl_or_b32 v2, v2, 9, v4
	v_cmp_eq_u32_e32 vcc, s8, v9
	s_nop 1
	v_cndmask_b32_e32 v2, v8, v2, vcc
	v_and_or_b32 v2, v3, s9, v2
	v_lshl_or_b32 v2, v2, 16, v1
	v_mad_u64_u32 v[0:1], s[0:1], s4, v0, v[6:7]
	v_add_u32_e32 v1, s11, v1
	global_store_dword v[0:1], v2, off
.LBB0_10:
	s_endpgm
	.section	.rodata,"a",@progbits
	.p2align	6, 0x0
	.amdhsa_kernel bluestein_single_back_len936_dim1_half_op_CI_CI
		.amdhsa_group_segment_fixed_size 11232
		.amdhsa_private_segment_fixed_size 0
		.amdhsa_kernarg_size 104
		.amdhsa_user_sgpr_count 2
		.amdhsa_user_sgpr_dispatch_ptr 0
		.amdhsa_user_sgpr_queue_ptr 0
		.amdhsa_user_sgpr_kernarg_segment_ptr 1
		.amdhsa_user_sgpr_dispatch_id 0
		.amdhsa_user_sgpr_kernarg_preload_length 0
		.amdhsa_user_sgpr_kernarg_preload_offset 0
		.amdhsa_user_sgpr_private_segment_size 0
		.amdhsa_uses_dynamic_stack 0
		.amdhsa_enable_private_segment 0
		.amdhsa_system_sgpr_workgroup_id_x 1
		.amdhsa_system_sgpr_workgroup_id_y 0
		.amdhsa_system_sgpr_workgroup_id_z 0
		.amdhsa_system_sgpr_workgroup_info 0
		.amdhsa_system_vgpr_workitem_id 0
		.amdhsa_next_free_vgpr 184
		.amdhsa_next_free_sgpr 29
		.amdhsa_accum_offset 184
		.amdhsa_reserve_vcc 1
		.amdhsa_float_round_mode_32 0
		.amdhsa_float_round_mode_16_64 0
		.amdhsa_float_denorm_mode_32 3
		.amdhsa_float_denorm_mode_16_64 3
		.amdhsa_dx10_clamp 1
		.amdhsa_ieee_mode 1
		.amdhsa_fp16_overflow 0
		.amdhsa_tg_split 0
		.amdhsa_exception_fp_ieee_invalid_op 0
		.amdhsa_exception_fp_denorm_src 0
		.amdhsa_exception_fp_ieee_div_zero 0
		.amdhsa_exception_fp_ieee_overflow 0
		.amdhsa_exception_fp_ieee_underflow 0
		.amdhsa_exception_fp_ieee_inexact 0
		.amdhsa_exception_int_div_zero 0
	.end_amdhsa_kernel
	.text
.Lfunc_end0:
	.size	bluestein_single_back_len936_dim1_half_op_CI_CI, .Lfunc_end0-bluestein_single_back_len936_dim1_half_op_CI_CI
                                        ; -- End function
	.section	.AMDGPU.csdata,"",@progbits
; Kernel info:
; codeLenInByte = 22552
; NumSgprs: 35
; NumVgprs: 184
; NumAgprs: 0
; TotalNumVgprs: 184
; ScratchSize: 0
; MemoryBound: 0
; FloatMode: 240
; IeeeMode: 1
; LDSByteSize: 11232 bytes/workgroup (compile time only)
; SGPRBlocks: 4
; VGPRBlocks: 22
; NumSGPRsForWavesPerEU: 35
; NumVGPRsForWavesPerEU: 184
; AccumOffset: 184
; Occupancy: 2
; WaveLimiterHint : 1
; COMPUTE_PGM_RSRC2:SCRATCH_EN: 0
; COMPUTE_PGM_RSRC2:USER_SGPR: 2
; COMPUTE_PGM_RSRC2:TRAP_HANDLER: 0
; COMPUTE_PGM_RSRC2:TGID_X_EN: 1
; COMPUTE_PGM_RSRC2:TGID_Y_EN: 0
; COMPUTE_PGM_RSRC2:TGID_Z_EN: 0
; COMPUTE_PGM_RSRC2:TIDIG_COMP_CNT: 0
; COMPUTE_PGM_RSRC3_GFX90A:ACCUM_OFFSET: 45
; COMPUTE_PGM_RSRC3_GFX90A:TG_SPLIT: 0
	.text
	.p2alignl 6, 3212836864
	.fill 256, 4, 3212836864
	.type	__hip_cuid_d5f42a1e05a647f8,@object ; @__hip_cuid_d5f42a1e05a647f8
	.section	.bss,"aw",@nobits
	.globl	__hip_cuid_d5f42a1e05a647f8
__hip_cuid_d5f42a1e05a647f8:
	.byte	0                               ; 0x0
	.size	__hip_cuid_d5f42a1e05a647f8, 1

	.ident	"AMD clang version 19.0.0git (https://github.com/RadeonOpenCompute/llvm-project roc-6.4.0 25133 c7fe45cf4b819c5991fe208aaa96edf142730f1d)"
	.section	".note.GNU-stack","",@progbits
	.addrsig
	.addrsig_sym __hip_cuid_d5f42a1e05a647f8
	.amdgpu_metadata
---
amdhsa.kernels:
  - .agpr_count:     0
    .args:
      - .actual_access:  read_only
        .address_space:  global
        .offset:         0
        .size:           8
        .value_kind:     global_buffer
      - .actual_access:  read_only
        .address_space:  global
        .offset:         8
        .size:           8
        .value_kind:     global_buffer
      - .actual_access:  read_only
        .address_space:  global
        .offset:         16
        .size:           8
        .value_kind:     global_buffer
      - .actual_access:  read_only
        .address_space:  global
        .offset:         24
        .size:           8
        .value_kind:     global_buffer
      - .actual_access:  read_only
        .address_space:  global
        .offset:         32
        .size:           8
        .value_kind:     global_buffer
      - .offset:         40
        .size:           8
        .value_kind:     by_value
      - .address_space:  global
        .offset:         48
        .size:           8
        .value_kind:     global_buffer
      - .address_space:  global
        .offset:         56
        .size:           8
        .value_kind:     global_buffer
      - .address_space:  global
        .offset:         64
        .size:           8
        .value_kind:     global_buffer
      - .address_space:  global
        .offset:         72
        .size:           8
        .value_kind:     global_buffer
      - .offset:         80
        .size:           4
        .value_kind:     by_value
      - .address_space:  global
        .offset:         88
        .size:           8
        .value_kind:     global_buffer
      - .address_space:  global
        .offset:         96
        .size:           8
        .value_kind:     global_buffer
    .group_segment_fixed_size: 11232
    .kernarg_segment_align: 8
    .kernarg_segment_size: 104
    .language:       OpenCL C
    .language_version:
      - 2
      - 0
    .max_flat_workgroup_size: 234
    .name:           bluestein_single_back_len936_dim1_half_op_CI_CI
    .private_segment_fixed_size: 0
    .sgpr_count:     35
    .sgpr_spill_count: 0
    .symbol:         bluestein_single_back_len936_dim1_half_op_CI_CI.kd
    .uniform_work_group_size: 1
    .uses_dynamic_stack: false
    .vgpr_count:     184
    .vgpr_spill_count: 0
    .wavefront_size: 64
amdhsa.target:   amdgcn-amd-amdhsa--gfx950
amdhsa.version:
  - 1
  - 2
...

	.end_amdgpu_metadata
